;; amdgpu-corpus repo=ROCm/rocFFT kind=compiled arch=gfx906 opt=O3
	.text
	.amdgcn_target "amdgcn-amd-amdhsa--gfx906"
	.amdhsa_code_object_version 6
	.protected	bluestein_single_back_len1144_dim1_dp_op_CI_CI ; -- Begin function bluestein_single_back_len1144_dim1_dp_op_CI_CI
	.globl	bluestein_single_back_len1144_dim1_dp_op_CI_CI
	.p2align	8
	.type	bluestein_single_back_len1144_dim1_dp_op_CI_CI,@function
bluestein_single_back_len1144_dim1_dp_op_CI_CI: ; @bluestein_single_back_len1144_dim1_dp_op_CI_CI
; %bb.0:
	s_mov_b64 s[54:55], s[2:3]
	s_mov_b64 s[52:53], s[0:1]
	s_load_dwordx4 s[0:3], s[4:5], 0x28
	v_mul_u32_u24_e32 v1, 0x277, v0
	v_add_u32_sdwa v253, s6, v1 dst_sel:DWORD dst_unused:UNUSED_PAD src0_sel:DWORD src1_sel:WORD_1
	v_mov_b32_e32 v254, 0
	s_add_u32 s52, s52, s7
	s_waitcnt lgkmcnt(0)
	v_cmp_gt_u64_e32 vcc, s[0:1], v[253:254]
	s_addc_u32 s53, s53, 0
	s_and_saveexec_b64 s[0:1], vcc
	s_cbranch_execz .LBB0_23
; %bb.1:
	s_load_dwordx2 s[14:15], s[4:5], 0x0
	s_load_dwordx2 s[12:13], s[4:5], 0x38
	s_movk_i32 s0, 0x68
	v_mul_lo_u16_sdwa v1, v1, s0 dst_sel:DWORD dst_unused:UNUSED_PAD src0_sel:WORD_1 src1_sel:DWORD
	v_sub_u16_e32 v254, v0, v1
	s_movk_i32 s0, 0x58
	v_cmp_gt_u16_e64 s[0:1], s0, v254
	v_lshlrev_b32_e32 v255, 4, v254
	s_and_saveexec_b64 s[6:7], s[0:1]
	s_cbranch_execz .LBB0_3
; %bb.2:
	s_load_dwordx2 s[8:9], s[4:5], 0x18
	s_waitcnt lgkmcnt(0)
	s_load_dwordx4 s[8:11], s[8:9], 0x0
	s_waitcnt lgkmcnt(0)
	v_mad_u64_u32 v[0:1], s[16:17], s10, v253, 0
	v_mad_u64_u32 v[2:3], s[16:17], s8, v254, 0
	;; [unrolled: 1-line block ×4, first 2 shown]
	v_mov_b32_e32 v1, v4
	v_lshlrev_b64 v[0:1], 4, v[0:1]
	v_mov_b32_e32 v3, v5
	v_mov_b32_e32 v6, s3
	v_lshlrev_b64 v[2:3], 4, v[2:3]
	v_add_co_u32_e32 v0, vcc, s2, v0
	v_addc_co_u32_e32 v1, vcc, v6, v1, vcc
	v_add_co_u32_e32 v12, vcc, v0, v2
	v_addc_co_u32_e32 v13, vcc, v1, v3, vcc
	v_mov_b32_e32 v0, s15
	v_add_co_u32_e32 v100, vcc, s14, v255
	s_mul_i32 s2, s9, 0x580
	s_mul_hi_u32 s3, s8, 0x580
	v_addc_co_u32_e32 v101, vcc, 0, v0, vcc
	s_add_i32 s2, s3, s2
	s_mul_i32 s3, s8, 0x580
	v_mov_b32_e32 v4, s2
	v_add_co_u32_e32 v14, vcc, s3, v12
	v_addc_co_u32_e32 v15, vcc, v13, v4, vcc
	global_load_dwordx4 v[0:3], v255, s[14:15]
	global_load_dwordx4 v[4:7], v[12:13], off
	global_load_dwordx4 v[8:11], v[14:15], off
	v_mov_b32_e32 v12, s2
	v_add_co_u32_e32 v28, vcc, s3, v14
	v_addc_co_u32_e32 v29, vcc, v15, v12, vcc
	v_mov_b32_e32 v20, s2
	v_add_co_u32_e32 v30, vcc, s3, v28
	v_addc_co_u32_e32 v31, vcc, v29, v20, vcc
	s_movk_i32 s8, 0x1000
	v_add_co_u32_e32 v48, vcc, s8, v100
	v_addc_co_u32_e32 v49, vcc, 0, v101, vcc
	global_load_dwordx4 v[12:15], v255, s[14:15] offset:1408
	global_load_dwordx4 v[16:19], v255, s[14:15] offset:2816
	global_load_dwordx4 v[20:23], v[28:29], off
	global_load_dwordx4 v[24:27], v[30:31], off
	v_mov_b32_e32 v28, s2
	v_add_co_u32_e32 v40, vcc, s3, v30
	v_addc_co_u32_e32 v41, vcc, v31, v28, vcc
	v_mov_b32_e32 v42, s2
	v_add_co_u32_e32 v50, vcc, s3, v40
	v_addc_co_u32_e32 v51, vcc, v41, v42, vcc
	global_load_dwordx4 v[28:31], v[40:41], off
	global_load_dwordx4 v[32:35], v[48:49], off offset:128
	global_load_dwordx4 v[36:39], v[48:49], off offset:1536
	s_nop 0
	global_load_dwordx4 v[40:43], v[50:51], off
	global_load_dwordx4 v[44:47], v[48:49], off offset:2944
	v_mov_b32_e32 v48, s2
	v_add_co_u32_e32 v52, vcc, s3, v50
	v_addc_co_u32_e32 v53, vcc, v51, v48, vcc
	s_movk_i32 s8, 0x2000
	v_add_co_u32_e32 v72, vcc, s8, v100
	v_addc_co_u32_e32 v73, vcc, 0, v101, vcc
	v_mov_b32_e32 v54, s2
	v_add_co_u32_e32 v64, vcc, s3, v52
	v_addc_co_u32_e32 v65, vcc, v53, v54, vcc
	v_mov_b32_e32 v66, s2
	v_add_co_u32_e32 v74, vcc, s3, v64
	v_addc_co_u32_e32 v75, vcc, v65, v66, vcc
	global_load_dwordx4 v[48:51], v[52:53], off
	s_nop 0
	global_load_dwordx4 v[52:55], v[64:65], off
	global_load_dwordx4 v[56:59], v[72:73], off offset:256
	global_load_dwordx4 v[60:63], v[72:73], off offset:1664
	s_nop 0
	global_load_dwordx4 v[64:67], v[74:75], off
	global_load_dwordx4 v[68:71], v[72:73], off offset:3072
	v_mov_b32_e32 v72, s2
	v_add_co_u32_e32 v76, vcc, s3, v74
	v_addc_co_u32_e32 v77, vcc, v75, v72, vcc
	s_movk_i32 s8, 0x3000
	v_add_co_u32_e32 v96, vcc, s8, v100
	v_addc_co_u32_e32 v97, vcc, 0, v101, vcc
	v_mov_b32_e32 v78, s2
	v_add_co_u32_e32 v88, vcc, s3, v76
	v_addc_co_u32_e32 v89, vcc, v77, v78, vcc
	v_mov_b32_e32 v90, s2
	v_add_co_u32_e32 v98, vcc, s3, v88
	v_addc_co_u32_e32 v99, vcc, v89, v90, vcc
	global_load_dwordx4 v[72:75], v[76:77], off
	s_nop 0
	global_load_dwordx4 v[76:79], v[88:89], off
	global_load_dwordx4 v[80:83], v[96:97], off offset:384
	global_load_dwordx4 v[84:87], v[96:97], off offset:1792
	s_nop 0
	global_load_dwordx4 v[88:91], v[98:99], off
	global_load_dwordx4 v[92:95], v[96:97], off offset:3200
	v_mov_b32_e32 v97, s2
	v_add_co_u32_e32 v96, vcc, s3, v98
	v_addc_co_u32_e32 v97, vcc, v99, v97, vcc
	s_movk_i32 s2, 0x4000
	v_add_co_u32_e32 v100, vcc, s2, v100
	v_addc_co_u32_e32 v101, vcc, 0, v101, vcc
	global_load_dwordx4 v[96:99], v[96:97], off
	s_waitcnt vmcnt(23)
	v_mul_f64 v[104:105], v[6:7], v[2:3]
	global_load_dwordx4 v[100:103], v[100:101], off offset:512
	v_mul_f64 v[106:107], v[4:5], v[2:3]
	v_fma_f64 v[2:3], v[4:5], v[0:1], v[104:105]
	s_waitcnt vmcnt(20)
	v_mul_f64 v[104:105], v[22:23], v[18:19]
	v_fma_f64 v[4:5], v[6:7], v[0:1], -v[106:107]
	v_mul_f64 v[0:1], v[10:11], v[14:15]
	v_mul_f64 v[14:15], v[8:9], v[14:15]
	;; [unrolled: 1-line block ×3, first 2 shown]
	v_fma_f64 v[6:7], v[8:9], v[12:13], v[0:1]
	s_waitcnt vmcnt(17)
	v_mul_f64 v[106:107], v[26:27], v[34:35]
	v_mul_f64 v[34:35], v[24:25], v[34:35]
	s_waitcnt vmcnt(16)
	v_mul_f64 v[108:109], v[30:31], v[38:39]
	v_mul_f64 v[38:39], v[28:29], v[38:39]
	v_fma_f64 v[8:9], v[10:11], v[12:13], -v[14:15]
	v_fma_f64 v[10:11], v[20:21], v[16:17], v[104:105]
	v_fma_f64 v[12:13], v[22:23], v[16:17], -v[18:19]
	s_waitcnt vmcnt(14)
	v_mul_f64 v[0:1], v[42:43], v[46:47]
	v_fma_f64 v[14:15], v[24:25], v[32:33], v[106:107]
	v_fma_f64 v[16:17], v[26:27], v[32:33], -v[34:35]
	v_fma_f64 v[18:19], v[28:29], v[36:37], v[108:109]
	v_fma_f64 v[20:21], v[30:31], v[36:37], -v[38:39]
	ds_write_b128 v255, v[2:5]
	ds_write_b128 v255, v[6:9] offset:1408
	ds_write_b128 v255, v[10:13] offset:2816
	;; [unrolled: 1-line block ×4, first 2 shown]
	v_mul_f64 v[2:3], v[40:41], v[46:47]
	v_fma_f64 v[0:1], v[40:41], v[44:45], v[0:1]
	s_waitcnt vmcnt(11)
	v_mul_f64 v[4:5], v[50:51], v[58:59]
	v_mul_f64 v[6:7], v[48:49], v[58:59]
	s_waitcnt vmcnt(10)
	v_mul_f64 v[8:9], v[54:55], v[62:63]
	v_mul_f64 v[10:11], v[52:53], v[62:63]
	s_waitcnt vmcnt(8)
	v_mul_f64 v[12:13], v[66:67], v[70:71]
	v_mul_f64 v[14:15], v[64:65], v[70:71]
	v_fma_f64 v[2:3], v[42:43], v[44:45], -v[2:3]
	v_fma_f64 v[4:5], v[48:49], v[56:57], v[4:5]
	v_fma_f64 v[6:7], v[50:51], v[56:57], -v[6:7]
	v_fma_f64 v[8:9], v[52:53], v[60:61], v[8:9]
	;; [unrolled: 2-line block ×3, first 2 shown]
	v_fma_f64 v[14:15], v[66:67], v[68:69], -v[14:15]
	s_waitcnt vmcnt(5)
	v_mul_f64 v[16:17], v[74:75], v[82:83]
	v_mul_f64 v[18:19], v[72:73], v[82:83]
	s_waitcnt vmcnt(4)
	v_mul_f64 v[20:21], v[78:79], v[86:87]
	v_mul_f64 v[22:23], v[76:77], v[86:87]
	s_waitcnt vmcnt(2)
	v_mul_f64 v[24:25], v[90:91], v[94:95]
	v_mul_f64 v[26:27], v[88:89], v[94:95]
	v_fma_f64 v[16:17], v[72:73], v[80:81], v[16:17]
	v_fma_f64 v[18:19], v[74:75], v[80:81], -v[18:19]
	v_fma_f64 v[20:21], v[76:77], v[84:85], v[20:21]
	v_fma_f64 v[22:23], v[78:79], v[84:85], -v[22:23]
	;; [unrolled: 2-line block ×3, first 2 shown]
	s_waitcnt vmcnt(0)
	v_mul_f64 v[28:29], v[98:99], v[102:103]
	v_mul_f64 v[30:31], v[96:97], v[102:103]
	v_fma_f64 v[28:29], v[96:97], v[100:101], v[28:29]
	v_fma_f64 v[30:31], v[98:99], v[100:101], -v[30:31]
	ds_write_b128 v255, v[0:3] offset:7040
	ds_write_b128 v255, v[4:7] offset:8448
	ds_write_b128 v255, v[8:11] offset:9856
	ds_write_b128 v255, v[12:15] offset:11264
	ds_write_b128 v255, v[16:19] offset:12672
	ds_write_b128 v255, v[20:23] offset:14080
	ds_write_b128 v255, v[24:27] offset:15488
	ds_write_b128 v255, v[28:31] offset:16896
.LBB0_3:
	s_or_b64 exec, exec, s[6:7]
	s_load_dwordx2 s[2:3], s[4:5], 0x20
	s_load_dwordx2 s[8:9], s[4:5], 0x8
	s_waitcnt lgkmcnt(0)
	s_barrier
	s_waitcnt lgkmcnt(0)
                                        ; implicit-def: $vgpr0_vgpr1
                                        ; implicit-def: $vgpr4_vgpr5
                                        ; implicit-def: $vgpr8_vgpr9
                                        ; implicit-def: $vgpr16_vgpr17
                                        ; implicit-def: $vgpr28_vgpr29
                                        ; implicit-def: $vgpr36_vgpr37
                                        ; implicit-def: $vgpr48_vgpr49
                                        ; implicit-def: $vgpr44_vgpr45
                                        ; implicit-def: $vgpr40_vgpr41
                                        ; implicit-def: $vgpr32_vgpr33
                                        ; implicit-def: $vgpr24_vgpr25
                                        ; implicit-def: $vgpr20_vgpr21
                                        ; implicit-def: $vgpr12_vgpr13
	s_and_saveexec_b64 s[4:5], s[0:1]
	s_cbranch_execz .LBB0_5
; %bb.4:
	ds_read_b128 v[0:3], v255
	ds_read_b128 v[12:15], v255 offset:1408
	ds_read_b128 v[4:7], v255 offset:2816
	;; [unrolled: 1-line block ×12, first 2 shown]
.LBB0_5:
	s_or_b64 exec, exec, s[4:5]
	s_waitcnt lgkmcnt(0)
	v_add_f64 v[92:93], v[14:15], -v[50:51]
	s_mov_b32 s22, 0x4267c47c
	s_mov_b32 s23, 0xbfddbe06
	v_add_f64 v[56:57], v[48:49], v[12:13]
	v_add_f64 v[108:109], v[6:7], -v[46:47]
	s_mov_b32 s4, 0xe00740e9
	s_mov_b32 s10, 0x42a4c3d2
	;; [unrolled: 1-line block ×3, first 2 shown]
	v_mul_f64 v[58:59], v[92:93], s[22:23]
	s_mov_b32 s11, 0xbfea55e2
	v_add_f64 v[66:67], v[4:5], v[44:45]
	s_mov_b32 s6, 0x1ea71119
	v_mul_f64 v[60:61], v[108:109], s[10:11]
	s_mov_b32 s7, 0x3fe22d96
	v_add_f64 v[124:125], v[22:23], -v[38:39]
	s_mov_b32 s26, 0x66966769
	v_fma_f64 v[52:53], v[56:57], s[4:5], v[58:59]
	s_mov_b32 s27, 0xbfefc445
	v_add_f64 v[82:83], v[12:13], -v[48:49]
	v_add_f64 v[72:73], v[36:37], v[20:21]
	v_fma_f64 v[68:69], v[66:67], s[6:7], v[60:61]
	v_add_f64 v[144:145], v[26:27], -v[42:43]
	s_mov_b32 s34, 0x2ef20147
	s_mov_b32 s18, 0xebaa3ed8
	v_add_f64 v[52:53], v[0:1], v[52:53]
	s_mov_b32 s35, 0xbfedeba7
	s_mov_b32 s19, 0x3fbedb7d
	v_add_f64 v[104:105], v[50:51], v[14:15]
	v_add_f64 v[88:89], v[4:5], -v[44:45]
	v_mul_f64 v[64:65], v[82:83], s[22:23]
	v_add_f64 v[80:81], v[40:41], v[24:25]
	v_mul_f64 v[74:75], v[144:145], s[34:35]
	v_add_f64 v[52:53], v[68:69], v[52:53]
	v_mul_f64 v[68:69], v[124:125], s[26:27]
	s_mov_b32 s16, 0xb2365da1
	s_mov_b32 s17, 0xbfd6b1d8
	v_add_f64 v[126:127], v[6:7], v[46:47]
	v_mul_f64 v[62:63], v[88:89], s[10:11]
	v_fma_f64 v[54:55], v[104:105], s[4:5], -v[64:65]
	v_fma_f64 v[98:99], v[80:81], s[16:17], v[74:75]
	v_mul_f64 v[94:95], v[92:93], s[10:11]
	v_fma_f64 v[86:87], v[72:73], s[18:19], v[68:69]
	v_mul_f64 v[183:184], v[82:83], s[10:11]
	v_add_f64 v[78:79], v[20:21], -v[36:37]
	v_mul_f64 v[110:111], v[108:109], s[34:35]
	v_fma_f64 v[70:71], v[126:127], s[6:7], -v[62:63]
	v_add_f64 v[54:55], v[2:3], v[54:55]
	v_mul_f64 v[132:133], v[88:89], s[34:35]
	s_mov_b32 s40, 0x4bc48dbf
	v_add_f64 v[52:53], v[86:87], v[52:53]
	v_fma_f64 v[100:101], v[104:105], s[6:7], -v[183:184]
	s_mov_b32 s41, 0xbfcea1e5
	v_add_f64 v[130:131], v[38:39], v[22:23]
	v_add_f64 v[84:85], v[24:25], -v[40:41]
	v_add_f64 v[54:55], v[70:71], v[54:55]
	v_mul_f64 v[70:71], v[78:79], s[26:27]
	v_fma_f64 v[114:115], v[66:67], s[16:17], v[110:111]
	v_add_f64 v[52:53], v[98:99], v[52:53]
	v_fma_f64 v[98:99], v[56:57], s[6:7], v[94:95]
	v_add_f64 v[100:101], v[2:3], v[100:101]
	v_fma_f64 v[116:117], v[126:127], s[16:17], -v[132:133]
	v_mul_f64 v[112:113], v[124:125], s[40:41]
	v_mul_f64 v[134:135], v[78:79], s[40:41]
	s_mov_b32 s36, 0x24c2f84
	s_mov_b32 s30, 0x93053d00
	;; [unrolled: 1-line block ×3, first 2 shown]
	v_add_f64 v[98:99], v[0:1], v[98:99]
	s_mov_b32 s31, 0xbfef11f4
	v_fma_f64 v[96:97], v[130:131], s[18:19], -v[70:71]
	v_add_f64 v[156:157], v[42:43], v[26:27]
	v_mul_f64 v[76:77], v[84:85], s[34:35]
	v_add_f64 v[177:178], v[10:11], -v[30:31]
	v_add_f64 v[128:129], v[8:9], -v[28:29]
	v_add_f64 v[100:101], v[116:117], v[100:101]
	v_add_f64 v[98:99], v[114:115], v[98:99]
	v_fma_f64 v[116:117], v[72:73], s[30:31], v[112:113]
	v_fma_f64 v[118:119], v[130:131], s[30:31], -v[134:135]
	v_mul_f64 v[114:115], v[144:145], s[36:37]
	v_mul_f64 v[136:137], v[84:85], s[36:37]
	s_mov_b32 s28, 0xd0032e0c
	s_mov_b32 s25, 0xbfe5384d
	;; [unrolled: 1-line block ×6, first 2 shown]
	v_add_f64 v[86:87], v[8:9], v[28:29]
	v_mul_f64 v[90:91], v[177:178], s[24:25]
	v_add_f64 v[54:55], v[96:97], v[54:55]
	v_fma_f64 v[96:97], v[156:157], s[16:17], -v[76:77]
	v_add_f64 v[199:200], v[10:11], v[30:31]
	v_mul_f64 v[106:107], v[128:129], s[24:25]
	v_add_f64 v[197:198], v[34:35], -v[18:19]
	v_add_f64 v[138:139], v[32:33], -v[16:17]
	v_add_f64 v[98:99], v[116:117], v[98:99]
	v_add_f64 v[100:101], v[118:119], v[100:101]
	v_fma_f64 v[122:123], v[80:81], s[28:29], v[114:115]
	v_fma_f64 v[146:147], v[156:157], s[28:29], -v[136:137]
	v_mul_f64 v[120:121], v[177:178], s[44:45]
	v_mul_f64 v[142:143], v[128:129], s[44:45]
	s_mov_b32 s39, 0x3fddbe06
	s_mov_b32 s38, s22
	v_fma_f64 v[102:103], v[86:87], s[28:29], v[90:91]
	v_add_f64 v[54:55], v[96:97], v[54:55]
	v_fma_f64 v[96:97], v[199:200], s[28:29], -v[106:107]
	v_add_f64 v[140:141], v[16:17], v[32:33]
	v_mul_f64 v[116:117], v[197:198], s[40:41]
	v_add_f64 v[201:202], v[18:19], v[34:35]
	v_mul_f64 v[118:119], v[138:139], s[40:41]
	v_add_f64 v[98:99], v[122:123], v[98:99]
	v_add_f64 v[100:101], v[146:147], v[100:101]
	v_fma_f64 v[148:149], v[86:87], s[18:19], v[120:121]
	v_fma_f64 v[150:151], v[199:200], s[18:19], -v[142:143]
	v_mul_f64 v[122:123], v[197:198], s[38:39]
	v_mul_f64 v[146:147], v[138:139], s[38:39]
	v_add_f64 v[52:53], v[102:103], v[52:53]
	v_add_f64 v[54:55], v[96:97], v[54:55]
	v_fma_f64 v[96:97], v[140:141], s[30:31], v[116:117]
	v_fma_f64 v[102:103], v[201:202], s[30:31], -v[118:119]
	v_add_f64 v[98:99], v[148:149], v[98:99]
	v_add_f64 v[148:149], v[150:151], v[100:101]
	v_fma_f64 v[150:151], v[140:141], s[4:5], v[122:123]
	v_fma_f64 v[152:153], v[201:202], s[4:5], -v[146:147]
	s_barrier
	v_add_f64 v[100:101], v[96:97], v[52:53]
	v_add_f64 v[102:103], v[102:103], v[54:55]
	v_mul_lo_u16_e32 v52, 13, v254
	v_add_f64 v[96:97], v[150:151], v[98:99]
	v_add_f64 v[98:99], v[152:153], v[148:149]
	buffer_store_dword v52, off, s[52:55], 0 ; 4-byte Folded Spill
	s_and_saveexec_b64 s[20:21], s[0:1]
	s_cbranch_execz .LBB0_7
; %bb.6:
	v_mul_f64 v[52:53], v[104:105], s[30:31]
	v_mul_f64 v[203:204], v[92:93], s[40:41]
	s_mov_b32 s47, 0x3fcea1e5
	s_mov_b32 s46, s40
	v_mul_f64 v[54:55], v[126:127], s[4:5]
	v_mul_f64 v[211:212], v[108:109], s[38:39]
	;; [unrolled: 1-line block ×4, first 2 shown]
	v_fma_f64 v[205:206], v[82:83], s[46:47], v[52:53]
	v_fma_f64 v[213:214], v[56:57], s[30:31], v[203:204]
	;; [unrolled: 1-line block ×3, first 2 shown]
	s_mov_b32 s49, 0x3fea55e2
	v_fma_f64 v[215:216], v[88:89], s[22:23], v[54:55]
	v_fma_f64 v[225:226], v[66:67], s[4:5], v[211:212]
	s_mov_b32 s48, s10
	v_mul_f64 v[221:222], v[156:157], s[6:7]
	v_add_f64 v[205:206], v[2:3], v[205:206]
	v_add_f64 v[213:214], v[0:1], v[213:214]
	v_fma_f64 v[227:228], v[78:79], s[36:37], v[209:210]
	v_fma_f64 v[229:230], v[72:73], s[28:29], v[223:224]
	;; [unrolled: 1-line block ×3, first 2 shown]
	v_add_f64 v[52:53], v[2:3], v[52:53]
	v_mul_f64 v[217:218], v[199:200], s[16:17]
	v_fma_f64 v[209:210], v[78:79], s[24:25], v[209:210]
	v_add_f64 v[205:206], v[215:216], v[205:206]
	v_mul_f64 v[215:216], v[144:145], s[48:49]
	v_add_f64 v[213:214], v[225:226], v[213:214]
	v_fma_f64 v[225:226], v[84:85], s[10:11], v[221:222]
	s_mov_b32 s43, 0x3fedeba7
	v_add_f64 v[52:53], v[54:55], v[52:53]
	s_mov_b32 s42, s34
	v_fma_f64 v[203:204], v[56:57], s[30:31], -v[203:204]
	v_add_f64 v[205:206], v[227:228], v[205:206]
	v_mul_f64 v[227:228], v[177:178], s[34:35]
	v_fma_f64 v[231:232], v[80:81], s[6:7], v[215:216]
	v_add_f64 v[213:214], v[229:230], v[213:214]
	v_fma_f64 v[229:230], v[128:129], s[42:43], v[217:218]
	v_fma_f64 v[221:222], v[84:85], s[48:49], v[221:222]
	v_add_f64 v[52:53], v[209:210], v[52:53]
	v_mul_f64 v[207:208], v[201:202], s[18:19]
	v_add_f64 v[54:55], v[225:226], v[205:206]
	v_mul_f64 v[205:206], v[197:198], s[44:45]
	v_fma_f64 v[225:226], v[86:87], s[16:17], v[227:228]
	v_add_f64 v[213:214], v[231:232], v[213:214]
	v_fma_f64 v[211:212], v[66:67], s[4:5], -v[211:212]
	v_add_f64 v[203:204], v[0:1], v[203:204]
	v_fma_f64 v[217:218], v[128:129], s[34:35], v[217:218]
	v_add_f64 v[221:222], v[221:222], v[52:53]
	v_add_f64 v[54:55], v[229:230], v[54:55]
	v_fma_f64 v[209:210], v[140:141], s[18:19], v[205:206]
	v_mul_f64 v[229:230], v[104:105], s[28:29]
	v_add_f64 v[213:214], v[225:226], v[213:214]
	v_fma_f64 v[231:232], v[138:139], s[26:27], v[207:208]
	v_fma_f64 v[223:224], v[72:73], s[28:29], -v[223:224]
	v_add_f64 v[203:204], v[211:212], v[203:204]
	v_add_f64 v[211:212], v[217:218], v[221:222]
	v_fma_f64 v[221:222], v[140:141], s[18:19], -v[205:206]
	v_mul_f64 v[237:238], v[156:157], s[30:31]
	v_fma_f64 v[217:218], v[82:83], s[36:37], v[229:230]
	v_add_f64 v[52:53], v[209:210], v[213:214]
	v_mul_f64 v[209:210], v[92:93], s[24:25]
	v_fma_f64 v[213:214], v[80:81], s[6:7], -v[215:216]
	v_mul_f64 v[215:216], v[126:127], s[18:19]
	v_add_f64 v[54:55], v[231:232], v[54:55]
	v_add_f64 v[203:204], v[223:224], v[203:204]
	v_mul_f64 v[223:224], v[108:109], s[44:45]
	v_mul_f64 v[231:232], v[130:131], s[6:7]
	v_add_f64 v[217:218], v[2:3], v[217:218]
	v_fma_f64 v[205:206], v[56:57], s[28:29], v[209:210]
	v_fma_f64 v[229:230], v[82:83], s[24:25], v[229:230]
	;; [unrolled: 1-line block ×3, first 2 shown]
	v_mul_f64 v[241:242], v[144:145], s[46:47]
	v_add_f64 v[203:204], v[213:214], v[203:204]
	v_mul_f64 v[213:214], v[124:125], s[10:11]
	v_fma_f64 v[235:236], v[66:67], s[18:19], v[223:224]
	v_fma_f64 v[239:240], v[78:79], s[48:49], v[231:232]
	v_add_f64 v[205:206], v[0:1], v[205:206]
	v_fma_f64 v[215:216], v[88:89], s[44:45], v[215:216]
	v_add_f64 v[217:218], v[233:234], v[217:218]
	v_mul_f64 v[233:234], v[199:200], s[4:5]
	v_add_f64 v[229:230], v[2:3], v[229:230]
	v_fma_f64 v[243:244], v[72:73], s[6:7], v[213:214]
	v_fma_f64 v[207:208], v[138:139], s[44:45], v[207:208]
	v_fma_f64 v[227:228], v[86:87], s[16:17], -v[227:228]
	v_add_f64 v[205:206], v[235:236], v[205:206]
	v_fma_f64 v[235:236], v[84:85], s[40:41], v[237:238]
	v_add_f64 v[217:218], v[239:240], v[217:218]
	v_mul_f64 v[239:240], v[201:202], s[16:17]
	v_mul_f64 v[245:246], v[177:178], s[38:39]
	v_fma_f64 v[247:248], v[80:81], s[30:31], v[241:242]
	v_fma_f64 v[231:232], v[78:79], s[10:11], v[231:232]
	v_add_f64 v[215:216], v[215:216], v[229:230]
	v_add_f64 v[205:206], v[243:244], v[205:206]
	v_fma_f64 v[229:230], v[128:129], s[22:23], v[233:234]
	v_add_f64 v[217:218], v[235:236], v[217:218]
	v_add_f64 v[203:204], v[227:228], v[203:204]
	v_mul_f64 v[227:228], v[197:198], s[34:35]
	v_fma_f64 v[235:236], v[86:87], s[4:5], v[245:246]
	v_fma_f64 v[237:238], v[84:85], s[46:47], v[237:238]
	v_add_f64 v[215:216], v[231:232], v[215:216]
	v_add_f64 v[243:244], v[247:248], v[205:206]
	v_fma_f64 v[231:232], v[138:139], s[42:43], v[239:240]
	v_add_f64 v[217:218], v[229:230], v[217:218]
	v_add_f64 v[205:206], v[207:208], v[211:212]
	v_fma_f64 v[211:212], v[56:57], s[28:29], -v[209:210]
	v_fma_f64 v[207:208], v[140:141], s[16:17], v[227:228]
	v_fma_f64 v[233:234], v[128:129], s[38:39], v[233:234]
	v_add_f64 v[215:216], v[237:238], v[215:216]
	v_add_f64 v[229:230], v[235:236], v[243:244]
	;; [unrolled: 1-line block ×4, first 2 shown]
	v_fma_f64 v[217:218], v[66:67], s[18:19], -v[223:224]
	v_mul_f64 v[221:222], v[104:105], s[16:17]
	v_add_f64 v[211:212], v[0:1], v[211:212]
	v_fma_f64 v[213:214], v[72:73], s[6:7], -v[213:214]
	v_add_f64 v[215:216], v[233:234], v[215:216]
	v_add_f64 v[207:208], v[207:208], v[229:230]
	v_mul_f64 v[229:230], v[92:93], s[34:35]
	v_mul_f64 v[231:232], v[126:127], s[28:29]
	v_fma_f64 v[223:224], v[138:139], s[34:35], v[239:240]
	v_fma_f64 v[233:234], v[82:83], s[42:43], v[221:222]
	v_add_f64 v[211:212], v[217:218], v[211:212]
	v_fma_f64 v[217:218], v[140:141], s[16:17], -v[227:228]
	v_fma_f64 v[227:228], v[80:81], s[30:31], -v[241:242]
	v_mul_f64 v[235:236], v[130:131], s[4:5]
	v_mul_f64 v[237:238], v[108:109], s[36:37]
	v_fma_f64 v[239:240], v[56:57], s[16:17], v[229:230]
	v_fma_f64 v[241:242], v[88:89], s[24:25], v[231:232]
	v_add_f64 v[233:234], v[2:3], v[233:234]
	v_add_f64 v[211:212], v[213:214], v[211:212]
	v_fma_f64 v[221:222], v[82:83], s[34:35], v[221:222]
	v_mul_f64 v[213:214], v[156:157], s[18:19]
	v_mul_f64 v[243:244], v[124:125], s[38:39]
	v_fma_f64 v[247:248], v[66:67], s[28:29], v[237:238]
	v_add_f64 v[239:240], v[0:1], v[239:240]
	v_fma_f64 v[249:250], v[78:79], s[22:23], v[235:236]
	v_add_f64 v[233:234], v[241:242], v[233:234]
	v_add_f64 v[211:212], v[227:228], v[211:212]
	v_fma_f64 v[227:228], v[88:89], s[36:37], v[231:232]
	v_add_f64 v[221:222], v[2:3], v[221:222]
	v_fma_f64 v[231:232], v[84:85], s[44:45], v[213:214]
	v_fma_f64 v[241:242], v[72:73], s[4:5], v[243:244]
	v_add_f64 v[239:240], v[247:248], v[239:240]
	v_mul_f64 v[247:248], v[144:145], s[26:27]
	v_add_f64 v[233:234], v[249:250], v[233:234]
	v_mul_f64 v[249:250], v[199:200], s[30:31]
	v_fma_f64 v[245:246], v[86:87], s[4:5], -v[245:246]
	v_add_f64 v[221:222], v[227:228], v[221:222]
	v_fma_f64 v[235:236], v[78:79], s[38:39], v[235:236]
	v_mul_f64 v[227:228], v[177:178], s[46:47]
	v_add_f64 v[239:240], v[241:242], v[239:240]
	v_fma_f64 v[241:242], v[80:81], s[18:19], v[247:248]
	v_add_f64 v[231:232], v[231:232], v[233:234]
	v_fma_f64 v[233:234], v[128:129], s[40:41], v[249:250]
	v_add_f64 v[211:212], v[245:246], v[211:212]
	v_mul_f64 v[245:246], v[201:202], s[6:7]
	v_fma_f64 v[251:252], v[84:85], s[26:27], v[213:214]
	v_add_f64 v[221:222], v[235:236], v[221:222]
	v_mul_f64 v[174:175], v[104:105], s[4:5]
	v_mul_f64 v[219:220], v[104:105], s[6:7]
	v_fma_f64 v[235:236], v[86:87], s[30:31], v[227:228]
	v_add_f64 v[239:240], v[241:242], v[239:240]
	v_mul_f64 v[241:242], v[197:198], s[48:49]
	v_add_f64 v[231:232], v[233:234], v[231:232]
	v_add_f64 v[213:214], v[223:224], v[215:216]
	v_fma_f64 v[215:216], v[128:129], s[46:47], v[249:250]
	v_add_f64 v[221:222], v[251:252], v[221:222]
	v_fma_f64 v[223:224], v[138:139], s[10:11], v[245:246]
	v_mul_f64 v[104:105], v[104:105], s[18:19]
	v_mul_f64 v[170:171], v[126:127], s[6:7]
	;; [unrolled: 1-line block ×3, first 2 shown]
	v_add_f64 v[235:236], v[235:236], v[239:240]
	v_fma_f64 v[239:240], v[140:141], s[6:7], v[241:242]
	v_add_f64 v[211:212], v[217:218], v[211:212]
	v_fma_f64 v[245:246], v[138:139], s[48:49], v[245:246]
	v_fma_f64 v[229:230], v[56:57], s[16:17], -v[229:230]
	v_add_f64 v[221:222], v[215:216], v[221:222]
	v_add_f64 v[217:218], v[223:224], v[231:232]
	v_mul_f64 v[126:127], v[126:127], s[30:31]
	v_fma_f64 v[231:232], v[82:83], s[44:45], v[104:105]
	v_fma_f64 v[82:83], v[82:83], s[26:27], v[104:105]
	v_add_f64 v[14:15], v[2:3], v[14:15]
	v_add_f64 v[12:13], v[0:1], v[12:13]
	v_mul_f64 v[160:161], v[130:131], s[18:19]
	v_mul_f64 v[191:192], v[130:131], s[30:31]
	v_add_f64 v[215:216], v[239:240], v[235:236]
	v_mul_f64 v[223:224], v[92:93], s[26:27]
	v_fma_f64 v[235:236], v[66:67], s[28:29], -v[237:238]
	v_add_f64 v[229:230], v[0:1], v[229:230]
	v_add_f64 v[92:93], v[245:246], v[221:222]
	v_mul_f64 v[130:131], v[130:131], s[16:17]
	v_fma_f64 v[221:222], v[88:89], s[46:47], v[126:127]
	v_fma_f64 v[88:89], v[88:89], s[40:41], v[126:127]
	v_add_f64 v[82:83], v[2:3], v[82:83]
	v_add_f64 v[183:184], v[183:184], v[219:220]
	;; [unrolled: 1-line block ×4, first 2 shown]
	v_mul_f64 v[164:165], v[56:57], s[4:5]
	v_mul_f64 v[168:169], v[56:57], s[6:7]
	;; [unrolled: 1-line block ×5, first 2 shown]
	v_fma_f64 v[237:238], v[56:57], s[18:19], v[223:224]
	v_add_f64 v[229:230], v[235:236], v[229:230]
	v_mul_f64 v[156:157], v[156:157], s[4:5]
	v_fma_f64 v[235:236], v[78:79], s[34:35], v[130:131]
	v_fma_f64 v[78:79], v[78:79], s[42:43], v[130:131]
	v_fma_f64 v[56:57], v[56:57], s[18:19], -v[223:224]
	v_add_f64 v[82:83], v[88:89], v[82:83]
	v_add_f64 v[88:89], v[132:133], v[193:194]
	;; [unrolled: 1-line block ×5, first 2 shown]
	v_mul_f64 v[162:163], v[66:67], s[6:7]
	v_mul_f64 v[172:173], v[66:67], s[16:17]
	;; [unrolled: 1-line block ×4, first 2 shown]
	v_fma_f64 v[239:240], v[72:73], s[4:5], -v[243:244]
	v_mul_f64 v[124:125], v[124:125], s[42:43]
	v_fma_f64 v[243:244], v[66:67], s[30:31], v[108:109]
	v_mul_f64 v[199:200], v[199:200], s[6:7]
	v_fma_f64 v[12:13], v[84:85], s[38:39], v[156:157]
	v_fma_f64 v[14:15], v[66:67], s[30:31], -v[108:109]
	v_add_f64 v[56:57], v[0:1], v[56:57]
	v_add_f64 v[66:67], v[78:79], v[82:83]
	;; [unrolled: 1-line block ×6, first 2 shown]
	v_mul_f64 v[144:145], v[144:145], s[38:39]
	v_fma_f64 v[20:21], v[128:129], s[10:11], v[199:200]
	v_fma_f64 v[22:23], v[72:73], s[16:17], -v[124:125]
	v_add_f64 v[14:15], v[14:15], v[56:57]
	v_add_f64 v[12:13], v[12:13], v[66:67]
	;; [unrolled: 1-line block ×6, first 2 shown]
	v_fma_f64 v[26:27], v[80:81], s[4:5], -v[144:145]
	v_mul_f64 v[154:155], v[72:73], s[18:19]
	v_add_f64 v[14:15], v[22:23], v[14:15]
	v_add_f64 v[12:13], v[20:21], v[12:13]
	;; [unrolled: 1-line block ×6, first 2 shown]
	v_add_f64 v[32:33], v[168:169], -v[94:95]
	v_add_f64 v[231:232], v[2:3], v[231:232]
	v_add_f64 v[10:11], v[26:27], v[14:15]
	;; [unrolled: 1-line block ×3, first 2 shown]
	v_mul_f64 v[166:167], v[72:73], s[30:31]
	v_add_f64 v[20:21], v[20:21], v[22:23]
	v_add_f64 v[22:23], v[164:165], -v[58:59]
	v_add_f64 v[6:7], v[18:19], v[6:7]
	v_add_f64 v[4:5], v[16:17], v[4:5]
	;; [unrolled: 1-line block ×5, first 2 shown]
	v_add_f64 v[26:27], v[162:163], -v[60:61]
	v_add_f64 v[34:35], v[172:173], -v[110:111]
	v_add_f64 v[16:17], v[0:1], v[22:23]
	v_add_f64 v[0:1], v[0:1], v[32:33]
	;; [unrolled: 1-line block ×4, first 2 shown]
	v_mul_f64 v[150:151], v[80:81], s[16:17]
	v_add_f64 v[22:23], v[70:71], v[160:161]
	v_add_f64 v[2:3], v[58:59], v[2:3]
	v_add_f64 v[32:33], v[154:155], -v[68:69]
	v_add_f64 v[16:17], v[26:27], v[16:17]
	v_mul_f64 v[158:159], v[80:81], s[28:29]
	v_add_f64 v[18:19], v[166:167], -v[112:113]
	v_add_f64 v[0:1], v[34:35], v[0:1]
	v_add_f64 v[221:222], v[221:222], v[231:232]
	v_fma_f64 v[231:232], v[80:81], s[18:19], -v[247:248]
	v_add_f64 v[229:230], v[239:240], v[229:230]
	v_fma_f64 v[245:246], v[72:73], s[16:17], v[124:125]
	v_add_f64 v[237:238], v[243:244], v[237:238]
	v_add_f64 v[6:7], v[42:43], v[6:7]
	;; [unrolled: 1-line block ×3, first 2 shown]
	v_mul_f64 v[148:149], v[86:87], s[28:29]
	v_add_f64 v[28:29], v[76:77], v[152:153]
	v_add_f64 v[2:3], v[22:23], v[2:3]
	v_add_f64 v[22:23], v[150:151], -v[74:75]
	v_add_f64 v[16:17], v[32:33], v[16:17]
	v_mul_f64 v[181:182], v[86:87], s[18:19]
	v_add_f64 v[26:27], v[158:159], -v[114:115]
	v_add_f64 v[0:1], v[18:19], v[0:1]
	v_mul_f64 v[176:177], v[177:178], s[10:11]
	v_mul_f64 v[189:190], v[201:202], s[30:31]
	;; [unrolled: 1-line block ×3, first 2 shown]
	v_fma_f64 v[239:240], v[84:85], s[22:23], v[156:157]
	v_add_f64 v[221:222], v[235:236], v[221:222]
	v_fma_f64 v[227:228], v[86:87], s[30:31], -v[227:228]
	v_add_f64 v[229:230], v[231:232], v[229:230]
	v_mul_f64 v[201:202], v[201:202], s[28:29]
	v_fma_f64 v[235:236], v[80:81], s[4:5], v[144:145]
	v_add_f64 v[237:238], v[245:246], v[237:238]
	v_add_f64 v[6:7], v[38:39], v[6:7]
	;; [unrolled: 1-line block ×3, first 2 shown]
	v_mul_f64 v[185:186], v[140:141], s[30:31]
	v_add_f64 v[30:31], v[106:107], v[179:180]
	v_add_f64 v[2:3], v[28:29], v[2:3]
	v_add_f64 v[28:29], v[148:149], -v[90:91]
	v_add_f64 v[16:17], v[22:23], v[16:17]
	v_mul_f64 v[225:226], v[140:141], s[4:5]
	v_add_f64 v[18:19], v[181:182], -v[120:121]
	v_add_f64 v[0:1], v[26:27], v[0:1]
	v_mul_f64 v[104:105], v[197:198], s[24:25]
	v_fma_f64 v[8:9], v[86:87], s[6:7], -v[176:177]
	v_fma_f64 v[231:232], v[128:129], s[48:49], v[199:200]
	v_add_f64 v[221:222], v[239:240], v[221:222]
	v_add_f64 v[197:198], v[227:228], v[229:230]
	v_fma_f64 v[229:230], v[86:87], s[6:7], v[176:177]
	v_add_f64 v[235:236], v[235:236], v[237:238]
	v_fma_f64 v[24:25], v[138:139], s[24:25], v[201:202]
	v_add_f64 v[14:15], v[146:147], v[233:234]
	v_add_f64 v[34:35], v[46:47], v[6:7]
	v_add_f64 v[4:5], v[44:45], v[4:5]
	v_add_f64 v[26:27], v[118:119], v[189:190]
	v_add_f64 v[30:31], v[30:31], v[2:3]
	v_add_f64 v[32:33], v[185:186], -v[116:117]
	v_add_f64 v[16:17], v[28:29], v[16:17]
	v_add_f64 v[22:23], v[225:226], -v[122:123]
	v_add_f64 v[0:1], v[18:19], v[0:1]
	v_fma_f64 v[56:57], v[140:141], s[28:29], -v[104:105]
	v_add_f64 v[18:19], v[8:9], v[10:11]
	v_fma_f64 v[239:240], v[140:141], s[6:7], -v[241:242]
	v_fma_f64 v[227:228], v[138:139], s[36:37], v[201:202]
	v_add_f64 v[221:222], v[231:232], v[221:222]
	v_fma_f64 v[126:127], v[140:141], s[28:29], v[104:105]
	v_add_f64 v[219:220], v[229:230], v[235:236]
	v_add_f64 v[2:3], v[24:25], v[12:13]
	;; [unrolled: 1-line block ×10, first 2 shown]
	v_mul_lo_u16_e32 v20, 13, v254
	v_lshlrev_b32_e32 v20, 4, v20
	v_add_f64 v[18:19], v[227:228], v[221:222]
	v_add_f64 v[16:17], v[126:127], v[219:220]
	ds_write_b128 v20, v[12:15]
	ds_write_b128 v20, v[8:11] offset:16
	ds_write_b128 v20, v[4:7] offset:32
	;; [unrolled: 1-line block ×12, first 2 shown]
.LBB0_7:
	s_or_b64 exec, exec, s[20:21]
	s_load_dwordx4 s[4:7], s[2:3], 0x0
	s_movk_i32 s2, 0x4f
	v_mul_lo_u16_sdwa v0, v254, s2 dst_sel:DWORD dst_unused:UNUSED_PAD src0_sel:BYTE_0 src1_sel:DWORD
	v_lshrrev_b16_e32 v16, 10, v0
	v_mul_lo_u16_e32 v0, 13, v16
	v_sub_u16_e32 v0, v254, v0
	v_and_b32_e32 v17, 0xff, v0
	v_mul_u32_u24_e32 v0, 10, v17
	v_lshlrev_b32_e32 v18, 4, v0
	s_waitcnt vmcnt(0) lgkmcnt(0)
	s_barrier
	global_load_dwordx4 v[48:51], v18, s[8:9]
	global_load_dwordx4 v[40:43], v18, s[8:9] offset:16
	global_load_dwordx4 v[12:15], v18, s[8:9] offset:32
	;; [unrolled: 1-line block ×9, first 2 shown]
	ds_read_b128 v[18:21], v255
	ds_read_b128 v[22:25], v255 offset:1664
	ds_read_b128 v[52:55], v255 offset:3328
	;; [unrolled: 1-line block ×10, first 2 shown]
	s_mov_b32 s28, 0xf8bb580b
	s_mov_b32 s16, 0x43842ef
	s_mov_b32 s24, 0xbb3a28a1
	s_mov_b32 s30, 0xfd768dbf
	s_mov_b32 s29, 0xbfe14ced
	s_mov_b32 s19, 0xbfed1bb4
	s_mov_b32 s18, 0x8eee2c13
	s_mov_b32 s17, 0xbfefac9e
	s_mov_b32 s25, 0xbfe82f19
	s_mov_b32 s31, 0xbfd207e7
	s_mov_b32 s20, 0x8764f0ba
	s_mov_b32 s2, 0xd9c712b6
	s_mov_b32 s10, 0x640f44db
	s_mov_b32 s22, 0x7f775887
	s_mov_b32 s26, 0x9bcd5057
	s_mov_b32 s21, 0x3feaeb8c
	s_mov_b32 s3, 0x3fda9628
	s_mov_b32 s11, 0xbfc2375f
	s_mov_b32 s23, 0xbfe4f49e
	s_mov_b32 s27, 0xbfeeb42a
	s_mov_b32 s39, 0x3fd207e7
	s_mov_b32 s38, s30
	s_mov_b32 s37, 0x3fefac9e
	s_mov_b32 s36, s16
	s_mov_b32 s35, 0x3fe14ced
	s_mov_b32 s34, s28
	v_mul_u32_u24_e32 v16, 0x8f, v16
	v_add_lshl_u32 v176, v16, v17, 4
	s_waitcnt vmcnt(0) lgkmcnt(0)
	s_barrier
	s_waitcnt lgkmcnt(0)
                                        ; implicit-def: $vgpr156_vgpr157
                                        ; implicit-def: $vgpr152_vgpr153
	v_mul_f64 v[26:27], v[24:25], v[50:51]
	v_mul_f64 v[88:89], v[22:23], v[50:51]
	v_mul_f64 v[90:91], v[54:55], v[42:43]
	v_mul_f64 v[92:93], v[52:53], v[42:43]
	v_mul_f64 v[94:95], v[58:59], v[14:15]
	v_mul_f64 v[104:105], v[56:57], v[14:15]
	v_mul_f64 v[106:107], v[62:63], v[6:7]
	v_mul_f64 v[108:109], v[60:61], v[6:7]
	v_mul_f64 v[110:111], v[66:67], v[46:47]
	v_mul_f64 v[112:113], v[64:65], v[46:47]
	v_mul_f64 v[114:115], v[70:71], v[30:31]
	v_mul_f64 v[116:117], v[68:69], v[30:31]
	v_mul_f64 v[118:119], v[74:75], v[10:11]
	v_mul_f64 v[120:121], v[72:73], v[10:11]
	v_mul_f64 v[126:127], v[82:83], v[34:35]
	v_mul_f64 v[128:129], v[80:81], v[34:35]
	v_mul_f64 v[130:131], v[86:87], v[38:39]
	v_mul_f64 v[132:133], v[84:85], v[38:39]
	v_fma_f64 v[22:23], v[22:23], v[48:49], -v[26:27]
	v_fma_f64 v[24:25], v[24:25], v[48:49], v[88:89]
	v_fma_f64 v[26:27], v[52:53], v[40:41], -v[90:91]
	v_fma_f64 v[52:53], v[54:55], v[40:41], v[92:93]
	;; [unrolled: 2-line block ×9, first 2 shown]
	v_add_f64 v[86:87], v[18:19], v[22:23]
	v_add_f64 v[88:89], v[20:21], v[24:25]
	v_mul_f64 v[124:125], v[76:77], v[2:3]
	v_mul_f64 v[122:123], v[78:79], v[2:3]
	v_add_f64 v[90:91], v[22:23], v[74:75]
	v_add_f64 v[92:93], v[24:25], v[84:85]
	;; [unrolled: 1-line block ×4, first 2 shown]
	v_add_f64 v[106:107], v[26:27], -v[80:81]
	v_add_f64 v[108:109], v[52:53], -v[82:83]
	v_add_f64 v[26:27], v[86:87], v[26:27]
	v_add_f64 v[52:53], v[88:89], v[52:53]
	v_add_f64 v[24:25], v[24:25], -v[84:85]
	v_add_f64 v[22:23], v[22:23], -v[74:75]
	v_fma_f64 v[78:79], v[78:79], v[0:1], v[124:125]
	v_fma_f64 v[76:77], v[76:77], v[0:1], -v[122:123]
	v_mul_f64 v[124:125], v[106:107], s[18:19]
	v_mul_f64 v[122:123], v[108:109], s[18:19]
	v_add_f64 v[26:27], v[26:27], v[54:55]
	v_add_f64 v[52:53], v[52:53], v[56:57]
	v_mul_f64 v[86:87], v[24:25], s[28:29]
	v_mul_f64 v[110:111], v[24:25], s[18:19]
	;; [unrolled: 1-line block ×6, first 2 shown]
	v_add_f64 v[26:27], v[26:27], v[58:59]
	v_add_f64 v[52:53], v[52:53], v[60:61]
	v_mul_f64 v[112:113], v[22:23], s[18:19]
	v_mul_f64 v[116:117], v[22:23], s[16:17]
	;; [unrolled: 1-line block ×4, first 2 shown]
	v_fma_f64 v[128:129], v[90:91], s[20:21], -v[86:87]
	v_fma_f64 v[86:87], v[90:91], s[20:21], v[86:87]
	v_add_f64 v[26:27], v[26:27], v[62:63]
	v_add_f64 v[52:53], v[52:53], v[64:65]
	v_fma_f64 v[132:133], v[90:91], s[2:3], -v[110:111]
	v_fma_f64 v[110:111], v[90:91], s[2:3], v[110:111]
	v_fma_f64 v[136:137], v[90:91], s[10:11], -v[114:115]
	v_fma_f64 v[114:115], v[90:91], s[10:11], v[114:115]
	;; [unrolled: 2-line block ×4, first 2 shown]
	v_add_f64 v[24:25], v[26:27], v[66:67]
	v_add_f64 v[26:27], v[52:53], v[68:69]
	v_fma_f64 v[146:147], v[92:93], s[26:27], v[22:23]
	v_fma_f64 v[52:53], v[92:93], s[26:27], -v[22:23]
	v_mul_f64 v[126:127], v[108:109], s[24:25]
	v_fma_f64 v[130:131], v[92:93], s[20:21], v[88:89]
	v_fma_f64 v[88:89], v[92:93], s[20:21], -v[88:89]
	v_fma_f64 v[134:135], v[92:93], s[2:3], v[112:113]
	v_add_f64 v[22:23], v[24:25], v[70:71]
	v_add_f64 v[24:25], v[26:27], v[72:73]
	v_fma_f64 v[112:113], v[92:93], s[2:3], -v[112:113]
	v_fma_f64 v[138:139], v[92:93], s[10:11], v[116:117]
	v_fma_f64 v[116:117], v[92:93], s[10:11], -v[116:117]
	v_fma_f64 v[142:143], v[92:93], s[22:23], v[120:121]
	v_fma_f64 v[120:121], v[92:93], s[22:23], -v[120:121]
	v_fma_f64 v[92:93], v[94:95], s[2:3], -v[122:123]
	v_fma_f64 v[122:123], v[94:95], s[2:3], v[122:123]
	v_add_f64 v[24:25], v[24:25], v[78:79]
	v_add_f64 v[26:27], v[18:19], v[128:129]
	;; [unrolled: 1-line block ×4, first 2 shown]
	v_fma_f64 v[148:149], v[104:105], s[2:3], v[124:125]
	v_fma_f64 v[124:125], v[104:105], s[2:3], -v[124:125]
	v_fma_f64 v[150:151], v[94:95], s[22:23], -v[126:127]
	v_add_f64 v[128:129], v[20:21], v[130:131]
	v_add_f64 v[24:25], v[24:25], v[82:83]
	;; [unrolled: 1-line block ×6, first 2 shown]
	v_mul_f64 v[92:93], v[108:109], s[38:39]
	v_add_f64 v[132:133], v[20:21], v[134:135]
	v_add_f64 v[112:113], v[20:21], v[112:113]
	;; [unrolled: 1-line block ×4, first 2 shown]
	v_mul_f64 v[122:123], v[106:107], s[38:39]
	v_add_f64 v[134:135], v[18:19], v[136:137]
	v_add_f64 v[136:137], v[20:21], v[138:139]
	;; [unrolled: 1-line block ×9, first 2 shown]
	v_mul_f64 v[74:75], v[106:107], s[24:25]
	v_add_f64 v[20:21], v[20:21], v[52:53]
	v_add_f64 v[52:53], v[148:149], v[128:129]
	;; [unrolled: 1-line block ×4, first 2 shown]
	v_fma_f64 v[128:129], v[94:95], s[26:27], -v[92:93]
	v_fma_f64 v[130:131], v[104:105], s[26:27], v[122:123]
	v_fma_f64 v[92:93], v[94:95], s[26:27], v[92:93]
	v_fma_f64 v[122:123], v[104:105], s[26:27], -v[122:123]
	v_mul_f64 v[142:143], v[106:107], s[36:37]
	v_add_f64 v[110:111], v[18:19], v[110:111]
	v_add_f64 v[118:119], v[18:19], v[118:119]
	;; [unrolled: 1-line block ×4, first 2 shown]
	v_fma_f64 v[90:91], v[104:105], s[22:23], v[74:75]
	v_mul_f64 v[124:125], v[108:109], s[36:37]
	v_add_f64 v[92:93], v[92:93], v[114:115]
	v_add_f64 v[114:115], v[122:123], v[116:117]
	v_fma_f64 v[116:117], v[104:105], s[10:11], v[142:143]
	v_fma_f64 v[126:127], v[94:95], s[22:23], v[126:127]
	v_fma_f64 v[74:75], v[104:105], s[22:23], -v[74:75]
	v_mul_f64 v[108:109], v[108:109], s[34:35]
	v_add_f64 v[90:91], v[90:91], v[132:133]
	v_fma_f64 v[132:133], v[94:95], s[10:11], -v[124:125]
	v_fma_f64 v[122:123], v[94:95], s[10:11], v[124:125]
	v_add_f64 v[124:125], v[56:57], -v[78:79]
	v_mul_f64 v[106:107], v[106:107], s[34:35]
	v_add_f64 v[82:83], v[116:117], v[82:83]
	v_add_f64 v[116:117], v[54:55], -v[76:77]
	v_add_f64 v[110:111], v[126:127], v[110:111]
	v_add_f64 v[74:75], v[74:75], v[112:113]
	v_add_f64 v[112:113], v[128:129], v[134:135]
	v_add_f64 v[126:127], v[130:131], v[136:137]
	v_fma_f64 v[128:129], v[104:105], s[10:11], -v[142:143]
	v_add_f64 v[118:119], v[122:123], v[118:119]
	v_add_f64 v[54:55], v[54:55], v[76:77]
	v_mul_f64 v[76:77], v[124:125], s[16:17]
	v_fma_f64 v[122:123], v[94:95], s[20:21], -v[108:109]
	v_fma_f64 v[130:131], v[104:105], s[20:21], v[106:107]
	v_add_f64 v[56:57], v[56:57], v[78:79]
	v_mul_f64 v[78:79], v[116:117], s[16:17]
	v_add_f64 v[80:81], v[132:133], v[80:81]
	v_add_f64 v[120:121], v[128:129], v[120:121]
	v_fma_f64 v[94:95], v[94:95], s[20:21], v[108:109]
	v_fma_f64 v[104:105], v[104:105], s[20:21], -v[106:107]
	v_fma_f64 v[106:107], v[54:55], s[10:11], -v[76:77]
	v_add_f64 v[108:109], v[122:123], v[138:139]
	v_add_f64 v[122:123], v[130:131], v[140:141]
	v_mul_f64 v[128:129], v[124:125], s[38:39]
	v_mul_f64 v[130:131], v[116:117], s[38:39]
	v_fma_f64 v[132:133], v[56:57], s[10:11], v[78:79]
	s_mov_b32 s19, 0x3fed1bb4
	v_add_f64 v[18:19], v[94:95], v[18:19]
	v_add_f64 v[20:21], v[104:105], v[20:21]
	;; [unrolled: 1-line block ×3, first 2 shown]
	v_fma_f64 v[76:77], v[54:55], s[10:11], v[76:77]
	v_fma_f64 v[78:79], v[56:57], s[10:11], -v[78:79]
	v_fma_f64 v[94:95], v[54:55], s[26:27], -v[128:129]
	v_fma_f64 v[104:105], v[56:57], s[26:27], v[130:131]
	v_add_f64 v[52:53], v[132:133], v[52:53]
	v_mul_f64 v[106:107], v[124:125], s[18:19]
	v_mul_f64 v[132:133], v[116:117], s[18:19]
                                        ; implicit-def: $vgpr148_vgpr149
	v_add_f64 v[76:77], v[76:77], v[84:85]
	v_add_f64 v[78:79], v[78:79], v[86:87]
	;; [unrolled: 1-line block ×4, first 2 shown]
	v_fma_f64 v[88:89], v[54:55], s[26:27], v[128:129]
	v_fma_f64 v[90:91], v[56:57], s[26:27], -v[130:131]
	v_fma_f64 v[94:95], v[54:55], s[2:3], -v[106:107]
	v_fma_f64 v[104:105], v[56:57], s[2:3], v[132:133]
	v_mul_f64 v[128:129], v[124:125], s[28:29]
	v_mul_f64 v[130:131], v[116:117], s[28:29]
	v_fma_f64 v[106:107], v[54:55], s[2:3], v[106:107]
	v_fma_f64 v[132:133], v[56:57], s[2:3], -v[132:133]
	v_add_f64 v[88:89], v[88:89], v[110:111]
	v_add_f64 v[74:75], v[90:91], v[74:75]
	;; [unrolled: 1-line block ×4, first 2 shown]
	v_fma_f64 v[104:105], v[54:55], s[20:21], -v[128:129]
	v_fma_f64 v[110:111], v[56:57], s[20:21], v[130:131]
	v_add_f64 v[92:93], v[106:107], v[92:93]
	v_add_f64 v[106:107], v[132:133], v[114:115]
	v_mul_f64 v[114:115], v[116:117], s[24:25]
	v_mul_f64 v[112:113], v[124:125], s[24:25]
	v_fma_f64 v[116:117], v[54:55], s[20:21], v[128:129]
	v_fma_f64 v[124:125], v[56:57], s[20:21], -v[130:131]
	v_add_f64 v[80:81], v[104:105], v[80:81]
	v_add_f64 v[104:105], v[60:61], -v[72:73]
	v_add_f64 v[82:83], v[110:111], v[82:83]
	v_add_f64 v[110:111], v[58:59], -v[70:71]
	v_fma_f64 v[128:129], v[56:57], s[22:23], v[114:115]
	v_add_f64 v[58:59], v[58:59], v[70:71]
	v_add_f64 v[60:61], v[60:61], v[72:73]
	;; [unrolled: 1-line block ×4, first 2 shown]
	v_mul_f64 v[70:71], v[104:105], s[24:25]
	v_fma_f64 v[126:127], v[54:55], s[22:23], -v[112:113]
	v_mul_f64 v[72:73], v[110:111], s[24:25]
	v_add_f64 v[120:121], v[128:129], v[122:123]
	v_fma_f64 v[54:55], v[54:55], s[22:23], v[112:113]
	v_mul_f64 v[112:113], v[104:105], s[36:37]
	v_fma_f64 v[56:57], v[56:57], s[22:23], -v[114:115]
	v_mul_f64 v[114:115], v[110:111], s[36:37]
	v_fma_f64 v[122:123], v[58:59], s[22:23], -v[70:71]
	v_fma_f64 v[70:71], v[58:59], s[22:23], v[70:71]
	v_fma_f64 v[124:125], v[60:61], s[22:23], v[72:73]
	v_fma_f64 v[72:73], v[60:61], s[22:23], -v[72:73]
	v_add_f64 v[18:19], v[54:55], v[18:19]
	v_fma_f64 v[54:55], v[58:59], s[10:11], -v[112:113]
	v_add_f64 v[20:21], v[56:57], v[20:21]
	v_fma_f64 v[56:57], v[60:61], s[10:11], v[114:115]
	v_add_f64 v[26:27], v[122:123], v[26:27]
	v_add_f64 v[70:71], v[70:71], v[76:77]
	v_mul_f64 v[76:77], v[104:105], s[28:29]
	v_add_f64 v[72:73], v[72:73], v[78:79]
	v_mul_f64 v[78:79], v[110:111], s[28:29]
	v_add_f64 v[52:53], v[124:125], v[52:53]
	v_add_f64 v[54:55], v[54:55], v[84:85]
	v_mul_f64 v[84:85], v[104:105], s[30:31]
	v_fma_f64 v[112:113], v[58:59], s[10:11], v[112:113]
	v_mul_f64 v[104:105], v[104:105], s[18:19]
	v_fma_f64 v[122:123], v[58:59], s[20:21], -v[76:77]
	v_fma_f64 v[76:77], v[58:59], s[20:21], v[76:77]
	v_fma_f64 v[124:125], v[60:61], s[20:21], v[78:79]
	v_fma_f64 v[78:79], v[60:61], s[20:21], -v[78:79]
	v_add_f64 v[56:57], v[56:57], v[86:87]
	v_mul_f64 v[86:87], v[110:111], s[30:31]
	v_fma_f64 v[114:115], v[60:61], s[10:11], -v[114:115]
	v_mul_f64 v[110:111], v[110:111], s[18:19]
	v_add_f64 v[108:109], v[126:127], v[108:109]
	v_add_f64 v[76:77], v[76:77], v[92:93]
	v_add_f64 v[92:93], v[64:65], -v[68:69]
	v_add_f64 v[78:79], v[78:79], v[106:107]
	v_add_f64 v[106:107], v[62:63], -v[66:67]
	v_add_f64 v[62:63], v[62:63], v[66:67]
	v_fma_f64 v[126:127], v[58:59], s[26:27], -v[84:85]
	v_add_f64 v[88:89], v[112:113], v[88:89]
	v_fma_f64 v[84:85], v[58:59], s[26:27], v[84:85]
	v_add_f64 v[64:65], v[64:65], v[68:69]
	v_mul_f64 v[66:67], v[92:93], s[30:31]
	v_fma_f64 v[112:113], v[58:59], s[2:3], -v[104:105]
	v_mul_f64 v[68:69], v[106:107], s[30:31]
	v_fma_f64 v[128:129], v[60:61], s[26:27], v[86:87]
	v_add_f64 v[74:75], v[114:115], v[74:75]
	v_fma_f64 v[86:87], v[60:61], s[26:27], -v[86:87]
	v_fma_f64 v[114:115], v[60:61], s[2:3], v[110:111]
	v_fma_f64 v[58:59], v[58:59], s[2:3], v[104:105]
	v_fma_f64 v[104:105], v[62:63], s[26:27], -v[66:67]
	v_add_f64 v[84:85], v[84:85], v[116:117]
	v_fma_f64 v[60:61], v[60:61], s[2:3], -v[110:111]
	v_fma_f64 v[110:111], v[64:65], s[26:27], v[68:69]
	v_add_f64 v[116:117], v[112:113], v[108:109]
	v_mul_f64 v[108:109], v[92:93], s[34:35]
	v_mul_f64 v[112:113], v[106:107], s[34:35]
	v_add_f64 v[86:87], v[86:87], v[118:119]
	v_add_f64 v[118:119], v[114:115], v[120:121]
	;; [unrolled: 1-line block ×4, first 2 shown]
	v_fma_f64 v[26:27], v[62:63], s[26:27], v[66:67]
	v_mul_f64 v[66:67], v[92:93], s[24:25]
	v_add_f64 v[90:91], v[122:123], v[90:91]
	v_add_f64 v[122:123], v[60:61], v[20:21]
	;; [unrolled: 1-line block ×3, first 2 shown]
	v_fma_f64 v[52:53], v[64:65], s[26:27], -v[68:69]
	v_fma_f64 v[58:59], v[62:63], s[20:21], -v[108:109]
	v_fma_f64 v[60:61], v[64:65], s[20:21], v[112:113]
	v_mul_f64 v[68:69], v[106:107], s[24:25]
	v_fma_f64 v[110:111], v[64:65], s[20:21], -v[112:113]
	v_add_f64 v[112:113], v[26:27], v[70:71]
	v_fma_f64 v[26:27], v[62:63], s[22:23], -v[66:67]
	v_fma_f64 v[104:105], v[62:63], s[20:21], v[108:109]
	v_add_f64 v[114:115], v[52:53], v[72:73]
	v_add_f64 v[52:53], v[58:59], v[54:55]
	v_add_f64 v[54:55], v[60:61], v[56:57]
	v_fma_f64 v[58:59], v[64:65], s[22:23], v[68:69]
	v_fma_f64 v[60:61], v[62:63], s[22:23], v[66:67]
	v_fma_f64 v[66:67], v[64:65], s[22:23], -v[68:69]
	v_mul_f64 v[68:69], v[92:93], s[18:19]
	v_mul_f64 v[70:71], v[106:107], s[18:19]
	v_add_f64 v[56:57], v[26:27], v[90:91]
	v_mul_f64 v[26:27], v[92:93], s[16:17]
	v_mul_f64 v[72:73], v[106:107], s[16:17]
	v_add_f64 v[94:95], v[124:125], v[94:95]
	v_add_f64 v[80:81], v[126:127], v[80:81]
	;; [unrolled: 1-line block ×6, first 2 shown]
	v_fma_f64 v[60:61], v[62:63], s[2:3], -v[68:69]
	v_fma_f64 v[66:67], v[64:65], s[2:3], v[70:71]
	v_add_f64 v[110:111], v[110:111], v[74:75]
	v_fma_f64 v[68:69], v[62:63], s[2:3], v[68:69]
	v_fma_f64 v[70:71], v[64:65], s[2:3], -v[70:71]
	v_fma_f64 v[74:75], v[62:63], s[10:11], -v[26:27]
	v_fma_f64 v[76:77], v[64:65], s[10:11], v[72:73]
	v_fma_f64 v[26:27], v[62:63], s[10:11], v[26:27]
	v_fma_f64 v[78:79], v[64:65], s[10:11], -v[72:73]
	v_add_f64 v[58:59], v[58:59], v[94:95]
	v_add_f64 v[60:61], v[60:61], v[80:81]
	;; [unrolled: 1-line block ×9, first 2 shown]
	ds_write_b128 v176, v[22:25]
	ds_write_b128 v176, v[18:21] offset:208
	ds_write_b128 v176, v[52:55] offset:416
	ds_write_b128 v176, v[56:59] offset:624
	ds_write_b128 v176, v[60:63] offset:832
	ds_write_b128 v176, v[68:71] offset:1040
	ds_write_b128 v176, v[72:75] offset:1248
	ds_write_b128 v176, v[64:67] offset:1456
	ds_write_b128 v176, v[104:107] offset:1664
	ds_write_b128 v176, v[108:111] offset:1872
	ds_write_b128 v176, v[112:115] offset:2080
	s_waitcnt lgkmcnt(0)
	s_barrier
	ds_read_b128 v[116:119], v255
	ds_read_b128 v[144:147], v255 offset:2288
	ds_read_b128 v[140:143], v255 offset:4576
	;; [unrolled: 1-line block ×7, first 2 shown]
	v_cmp_gt_u16_e64 s[2:3], 39, v254
	s_and_saveexec_b64 s[10:11], s[2:3]
	s_cbranch_execz .LBB0_9
; %bb.8:
	ds_read_b128 v[104:107], v255 offset:1664
	ds_read_b128 v[108:111], v255 offset:3952
	;; [unrolled: 1-line block ×8, first 2 shown]
.LBB0_9:
	s_or_b64 exec, exec, s[10:11]
	v_add_u32_e32 v16, 0x68, v254
	v_subrev_u32_e32 v17, 39, v254
	v_cndmask_b32_e64 v16, v17, v16, s[2:3]
	v_mul_hi_i32_i24_e32 v17, 0x70, v16
	v_mul_i32_i24_e32 v16, 0x70, v16
	v_mov_b32_e32 v18, s9
	v_add_co_u32_e32 v64, vcc, s8, v16
	v_addc_co_u32_e32 v65, vcc, v18, v17, vcc
	global_load_dwordx4 v[221:224], v[64:65], off offset:2096
	global_load_dwordx4 v[24:27], v[64:65], off offset:2112
	;; [unrolled: 1-line block ×4, first 2 shown]
	v_mov_b32_e32 v53, s9
	s_movk_i32 s10, 0x70
	v_mov_b32_e32 v52, s8
	v_mad_u64_u32 v[66:67], s[8:9], v254, s10, v[52:53]
	global_load_dwordx4 v[20:23], v[64:65], off offset:2160
	global_load_dwordx4 v[241:244], v[64:65], off offset:2176
	global_load_dwordx4 v[92:95], v[66:67], off offset:2080
	global_load_dwordx4 v[88:91], v[66:67], off offset:2096
	global_load_dwordx4 v[84:87], v[66:67], off offset:2112
	global_load_dwordx4 v[76:79], v[66:67], off offset:2128
	global_load_dwordx4 v[72:75], v[66:67], off offset:2144
	global_load_dwordx4 v[80:83], v[66:67], off offset:2160
	global_load_dwordx4 v[68:71], v[66:67], off offset:2176
	global_load_dwordx4 v[56:59], v[64:65], off offset:2080
	s_mov_b32 s8, 0x667f3bcd
	s_mov_b32 s9, 0xbfe6a09e
	;; [unrolled: 1-line block ×4, first 2 shown]
	s_waitcnt vmcnt(9) lgkmcnt(1)
	v_mul_f64 v[177:178], v[154:155], v[22:23]
	v_mul_f64 v[160:161], v[114:115], v[223:224]
	;; [unrolled: 1-line block ×8, first 2 shown]
	s_waitcnt vmcnt(7)
	v_mul_f64 v[185:186], v[146:147], v[94:95]
	v_fma_f64 v[160:161], v[112:113], v[221:222], -v[160:161]
	v_fma_f64 v[96:97], v[96:97], v[24:25], -v[164:165]
	buffer_store_dword v24, off, s[52:55], 0 offset:36 ; 4-byte Folded Spill
	s_nop 0
	buffer_store_dword v25, off, s[52:55], 0 offset:40 ; 4-byte Folded Spill
	buffer_store_dword v26, off, s[52:55], 0 offset:44 ; 4-byte Folded Spill
	buffer_store_dword v27, off, s[52:55], 0 offset:48 ; 4-byte Folded Spill
	v_fma_f64 v[112:113], v[148:149], v[16:17], -v[172:173]
	buffer_store_dword v16, off, s[52:55], 0 offset:4 ; 4-byte Folded Spill
	s_nop 0
	buffer_store_dword v17, off, s[52:55], 0 offset:8 ; 4-byte Folded Spill
	buffer_store_dword v18, off, s[52:55], 0 offset:12 ; 4-byte Folded Spill
	buffer_store_dword v19, off, s[52:55], 0 offset:16 ; 4-byte Folded Spill
	v_fma_f64 v[148:149], v[152:153], v[20:21], -v[177:178]
	buffer_store_dword v20, off, s[52:55], 0 offset:20 ; 4-byte Folded Spill
	s_nop 0
	buffer_store_dword v21, off, s[52:55], 0 offset:24 ; 4-byte Folded Spill
	buffer_store_dword v22, off, s[52:55], 0 offset:28 ; 4-byte Folded Spill
	buffer_store_dword v23, off, s[52:55], 0 offset:32 ; 4-byte Folded Spill
	v_mul_f64 v[187:188], v[144:145], v[94:95]
	s_waitcnt vmcnt(18)
	v_mul_f64 v[189:190], v[142:143], v[90:91]
	v_mul_f64 v[191:192], v[140:141], v[90:91]
	s_waitcnt vmcnt(17)
	v_mul_f64 v[193:194], v[138:139], v[86:87]
	;; [unrolled: 3-line block ×5, first 2 shown]
	v_mul_f64 v[207:208], v[124:125], v[82:83]
	s_waitcnt vmcnt(13) lgkmcnt(0)
	v_mul_f64 v[209:210], v[122:123], v[70:71]
	v_mul_f64 v[211:212], v[120:121], v[70:71]
	;; [unrolled: 1-line block ×4, first 2 shown]
	s_waitcnt vmcnt(12)
	v_mul_f64 v[213:214], v[110:111], v[58:59]
	v_mul_f64 v[215:216], v[108:109], v[58:59]
	v_fma_f64 v[144:145], v[144:145], v[92:93], -v[185:186]
	v_fma_f64 v[146:147], v[146:147], v[92:93], v[187:188]
	v_fma_f64 v[140:141], v[140:141], v[88:89], -v[189:190]
	v_fma_f64 v[142:143], v[142:143], v[88:89], v[191:192]
	v_fma_f64 v[136:137], v[136:137], v[84:85], -v[193:194]
	v_fma_f64 v[138:139], v[138:139], v[84:85], v[195:196]
	v_fma_f64 v[132:133], v[132:133], v[76:77], -v[197:198]
	v_fma_f64 v[134:135], v[134:135], v[76:77], v[199:200]
	v_fma_f64 v[128:129], v[128:129], v[72:73], -v[201:202]
	v_fma_f64 v[130:131], v[130:131], v[72:73], v[203:204]
	v_fma_f64 v[124:125], v[124:125], v[80:81], -v[205:206]
	v_fma_f64 v[126:127], v[126:127], v[80:81], v[207:208]
	v_fma_f64 v[120:121], v[120:121], v[68:69], -v[209:210]
	v_fma_f64 v[122:123], v[122:123], v[68:69], v[211:212]
	v_fma_f64 v[162:163], v[114:115], v[221:222], v[162:163]
	v_fma_f64 v[152:153], v[156:157], v[241:242], -v[181:182]
	v_fma_f64 v[156:157], v[108:109], v[56:57], -v[213:214]
	v_add_f64 v[108:109], v[116:117], -v[132:133]
	v_add_f64 v[124:125], v[140:141], -v[124:125]
	;; [unrolled: 1-line block ×7, first 2 shown]
	v_mul_f64 v[168:169], v[102:103], v[62:63]
	v_fma_f64 v[116:117], v[116:117], 2.0, -v[108:109]
	v_fma_f64 v[132:133], v[140:141], 2.0, -v[124:125]
	v_mul_f64 v[170:171], v[100:101], v[62:63]
	v_fma_f64 v[140:141], v[144:145], 2.0, -v[128:129]
	v_add_f64 v[144:145], v[108:109], -v[126:127]
	v_add_f64 v[148:149], v[160:161], -v[148:149]
	v_fma_f64 v[100:101], v[100:101], v[60:61], -v[168:169]
	v_fma_f64 v[102:103], v[102:103], v[60:61], v[170:171]
	v_add_f64 v[100:101], v[104:105], -v[100:101]
	v_add_f64 v[102:103], v[106:107], -v[102:103]
	v_fma_f64 v[104:105], v[104:105], 2.0, -v[100:101]
	v_fma_f64 v[106:107], v[106:107], 2.0, -v[102:103]
	v_fma_f64 v[98:99], v[98:99], v[24:25], v[166:167]
	v_fma_f64 v[114:115], v[150:151], v[16:17], v[174:175]
	;; [unrolled: 1-line block ×5, first 2 shown]
	v_add_f64 v[110:111], v[118:119], -v[134:135]
	v_fma_f64 v[134:135], v[142:143], 2.0, -v[126:127]
	v_fma_f64 v[142:143], v[146:147], 2.0, -v[130:131]
	v_fma_f64 v[126:127], v[138:139], 2.0, -v[122:123]
	v_add_f64 v[138:139], v[130:131], v[120:121]
	v_add_f64 v[150:151], v[162:163], -v[150:151]
	v_add_f64 v[170:171], v[158:159], -v[114:115]
	v_fma_f64 v[118:119], v[118:119], 2.0, -v[110:111]
	v_add_f64 v[146:147], v[110:111], v[124:125]
	v_fma_f64 v[124:125], v[136:137], 2.0, -v[120:121]
	v_add_f64 v[136:137], v[128:129], -v[122:123]
	v_add_f64 v[120:121], v[116:117], -v[132:133]
	v_fma_f64 v[132:133], v[108:109], 2.0, -v[144:145]
	v_fma_f64 v[158:159], v[158:159], 2.0, -v[170:171]
	v_add_f64 v[122:123], v[118:119], -v[134:135]
	v_fma_f64 v[134:135], v[110:111], 2.0, -v[146:147]
	v_add_f64 v[108:109], v[140:141], -v[124:125]
	v_fma_f64 v[164:165], v[128:129], 2.0, -v[136:137]
	v_fma_f64 v[128:129], v[130:131], 2.0, -v[138:139]
	v_add_f64 v[110:111], v[142:143], -v[126:127]
	v_fma_f64 v[166:167], v[116:117], 2.0, -v[120:121]
	v_fma_f64 v[168:169], v[118:119], 2.0, -v[122:123]
	;; [unrolled: 1-line block ×3, first 2 shown]
	v_fma_f64 v[130:131], v[164:165], s[8:9], v[132:133]
	v_fma_f64 v[140:141], v[128:129], s[8:9], v[134:135]
	v_fma_f64 v[118:119], v[142:143], 2.0, -v[110:111]
	v_add_f64 v[124:125], v[120:121], -v[110:111]
	v_add_f64 v[126:127], v[122:123], v[108:109]
	v_add_f64 v[142:143], v[156:157], -v[112:113]
	v_add_f64 v[112:113], v[166:167], -v[116:117]
	v_fma_f64 v[128:129], v[128:129], s[8:9], v[130:131]
	v_fma_f64 v[130:131], v[164:165], s[10:11], v[140:141]
	v_add_f64 v[114:115], v[168:169], -v[118:119]
	v_fma_f64 v[116:117], v[120:121], 2.0, -v[124:125]
	v_fma_f64 v[118:119], v[122:123], 2.0, -v[126:127]
	;; [unrolled: 1-line block ×3, first 2 shown]
	v_fma_f64 v[140:141], v[136:137], s[10:11], v[144:145]
	v_fma_f64 v[164:165], v[138:139], s[10:11], v[146:147]
	v_fma_f64 v[120:121], v[132:133], 2.0, -v[128:129]
	v_fma_f64 v[122:123], v[134:135], 2.0, -v[130:131]
	v_add_f64 v[132:133], v[96:97], -v[152:153]
	v_add_f64 v[134:135], v[98:99], -v[154:155]
	v_fma_f64 v[152:153], v[160:161], 2.0, -v[148:149]
	v_fma_f64 v[154:155], v[162:163], 2.0, -v[150:151]
	v_add_f64 v[160:161], v[100:101], -v[150:151]
	v_add_f64 v[162:163], v[102:103], v[148:149]
	v_fma_f64 v[108:109], v[166:167], 2.0, -v[112:113]
	v_fma_f64 v[110:111], v[168:169], 2.0, -v[114:115]
	;; [unrolled: 1-line block ×4, first 2 shown]
	v_add_f64 v[148:149], v[142:143], -v[134:135]
	v_add_f64 v[150:151], v[170:171], v[132:133]
	v_add_f64 v[152:153], v[104:105], -v[152:153]
	v_add_f64 v[154:155], v[106:107], -v[154:155]
	v_fma_f64 v[166:167], v[100:101], 2.0, -v[160:161]
	v_fma_f64 v[168:169], v[102:103], 2.0, -v[162:163]
	v_add_f64 v[102:103], v[156:157], -v[96:97]
	v_add_f64 v[100:101], v[158:159], -v[98:99]
	v_fma_f64 v[98:99], v[142:143], 2.0, -v[148:149]
	v_fma_f64 v[96:97], v[170:171], 2.0, -v[150:151]
	v_fma_f64 v[132:133], v[138:139], s[8:9], v[140:141]
	v_fma_f64 v[134:135], v[136:137], s[10:11], v[164:165]
	v_fma_f64 v[140:141], v[104:105], 2.0, -v[152:153]
	v_fma_f64 v[142:143], v[106:107], 2.0, -v[154:155]
	;; [unrolled: 1-line block ×4, first 2 shown]
	v_fma_f64 v[156:157], v[98:99], s[8:9], v[166:167]
	v_fma_f64 v[158:159], v[96:97], s[8:9], v[168:169]
	;; [unrolled: 1-line block ×4, first 2 shown]
	v_fma_f64 v[136:137], v[144:145], 2.0, -v[132:133]
	v_fma_f64 v[138:139], v[146:147], 2.0, -v[134:135]
	v_add_f64 v[144:145], v[140:141], -v[104:105]
	v_add_f64 v[146:147], v[142:143], -v[106:107]
	v_fma_f64 v[96:97], v[96:97], s[8:9], v[156:157]
	v_fma_f64 v[98:99], v[98:99], s[10:11], v[158:159]
	v_add_f64 v[100:101], v[152:153], -v[100:101]
	v_add_f64 v[102:103], v[154:155], v[102:103]
	v_fma_f64 v[104:105], v[150:151], s[8:9], v[164:165]
	v_fma_f64 v[106:107], v[148:149], s[10:11], v[170:171]
	v_fma_f64 v[140:141], v[140:141], 2.0, -v[144:145]
	v_fma_f64 v[142:143], v[142:143], 2.0, -v[146:147]
	;; [unrolled: 1-line block ×8, first 2 shown]
	ds_write_b128 v255, v[108:111]
	ds_write_b128 v255, v[120:123] offset:2288
	ds_write_b128 v255, v[116:119] offset:4576
	;; [unrolled: 1-line block ×7, first 2 shown]
	s_and_saveexec_b64 s[8:9], s[2:3]
	s_cbranch_execz .LBB0_11
; %bb.10:
	ds_write_b128 v255, v[140:143] offset:1664
	ds_write_b128 v255, v[148:151] offset:3952
	;; [unrolled: 1-line block ×8, first 2 shown]
.LBB0_11:
	s_or_b64 exec, exec, s[8:9]
	s_waitcnt vmcnt(0) lgkmcnt(0)
	s_barrier
	s_and_saveexec_b64 s[8:9], s[0:1]
	s_cbranch_execz .LBB0_13
; %bb.12:
	v_add_co_u32_e32 v160, vcc, s14, v255
	v_mov_b32_e32 v16, s15
	v_addc_co_u32_e32 v161, vcc, 0, v16, vcc
	v_add_co_u32_e32 v174, vcc, 0x4780, v160
	v_addc_co_u32_e32 v175, vcc, 0, v161, vcc
	v_add_co_u32_e32 v166, vcc, 0x4000, v160
	v_addc_co_u32_e32 v167, vcc, 0, v161, vcc
	global_load_dwordx4 v[166:169], v[166:167], off offset:1920
	ds_read_b128 v[162:165], v255
	s_movk_i32 s10, 0x5000
	s_waitcnt vmcnt(0) lgkmcnt(0)
	v_mul_f64 v[170:171], v[164:165], v[168:169]
	v_fma_f64 v[170:171], v[162:163], v[166:167], -v[170:171]
	v_mul_f64 v[162:163], v[162:163], v[168:169]
	v_fma_f64 v[172:173], v[164:165], v[166:167], v[162:163]
	global_load_dwordx4 v[166:169], v[174:175], off offset:1408
	ds_read_b128 v[162:165], v255 offset:1408
	ds_write_b128 v255, v[170:173]
	s_waitcnt vmcnt(0) lgkmcnt(1)
	v_mul_f64 v[170:171], v[164:165], v[168:169]
	v_fma_f64 v[170:171], v[162:163], v[166:167], -v[170:171]
	v_mul_f64 v[162:163], v[162:163], v[168:169]
	v_fma_f64 v[172:173], v[164:165], v[166:167], v[162:163]
	global_load_dwordx4 v[166:169], v[174:175], off offset:2816
	ds_read_b128 v[162:165], v255 offset:2816
	v_add_co_u32_e32 v174, vcc, s10, v160
	v_addc_co_u32_e32 v175, vcc, 0, v161, vcc
	s_movk_i32 s10, 0x6000
	ds_write_b128 v255, v[170:173] offset:1408
	s_waitcnt vmcnt(0) lgkmcnt(1)
	v_mul_f64 v[170:171], v[164:165], v[168:169]
	v_fma_f64 v[170:171], v[162:163], v[166:167], -v[170:171]
	v_mul_f64 v[162:163], v[162:163], v[168:169]
	v_fma_f64 v[172:173], v[164:165], v[166:167], v[162:163]
	global_load_dwordx4 v[166:169], v[174:175], off offset:2048
	ds_read_b128 v[162:165], v255 offset:4224
	ds_write_b128 v255, v[170:173] offset:2816
	s_waitcnt vmcnt(0) lgkmcnt(1)
	v_mul_f64 v[170:171], v[164:165], v[168:169]
	v_fma_f64 v[170:171], v[162:163], v[166:167], -v[170:171]
	v_mul_f64 v[162:163], v[162:163], v[168:169]
	v_fma_f64 v[172:173], v[164:165], v[166:167], v[162:163]
	global_load_dwordx4 v[166:169], v[174:175], off offset:3456
	ds_read_b128 v[162:165], v255 offset:5632
	v_add_co_u32_e32 v174, vcc, s10, v160
	v_addc_co_u32_e32 v175, vcc, 0, v161, vcc
	s_movk_i32 s10, 0x7000
	ds_write_b128 v255, v[170:173] offset:4224
	s_waitcnt vmcnt(0) lgkmcnt(1)
	v_mul_f64 v[170:171], v[164:165], v[168:169]
	v_fma_f64 v[170:171], v[162:163], v[166:167], -v[170:171]
	v_mul_f64 v[162:163], v[162:163], v[168:169]
	v_fma_f64 v[172:173], v[164:165], v[166:167], v[162:163]
	global_load_dwordx4 v[166:169], v[174:175], off offset:768
	ds_read_b128 v[162:165], v255 offset:7040
	ds_write_b128 v255, v[170:173] offset:5632
	s_waitcnt vmcnt(0) lgkmcnt(1)
	v_mul_f64 v[170:171], v[164:165], v[168:169]
	v_fma_f64 v[170:171], v[162:163], v[166:167], -v[170:171]
	v_mul_f64 v[162:163], v[162:163], v[168:169]
	v_fma_f64 v[172:173], v[164:165], v[166:167], v[162:163]
	global_load_dwordx4 v[166:169], v[174:175], off offset:2176
	ds_read_b128 v[162:165], v255 offset:8448
	;; [unrolled: 8-line block ×3, first 2 shown]
	v_add_co_u32_e32 v174, vcc, s10, v160
	v_addc_co_u32_e32 v175, vcc, 0, v161, vcc
	s_mov_b32 s10, 0x8000
	ds_write_b128 v255, v[170:173] offset:8448
	s_waitcnt vmcnt(0) lgkmcnt(1)
	v_mul_f64 v[170:171], v[164:165], v[168:169]
	v_fma_f64 v[170:171], v[162:163], v[166:167], -v[170:171]
	v_mul_f64 v[162:163], v[162:163], v[168:169]
	v_fma_f64 v[172:173], v[164:165], v[166:167], v[162:163]
	global_load_dwordx4 v[166:169], v[174:175], off offset:896
	ds_read_b128 v[162:165], v255 offset:11264
	ds_write_b128 v255, v[170:173] offset:9856
	s_waitcnt vmcnt(0) lgkmcnt(1)
	v_mul_f64 v[170:171], v[164:165], v[168:169]
	v_fma_f64 v[170:171], v[162:163], v[166:167], -v[170:171]
	v_mul_f64 v[162:163], v[162:163], v[168:169]
	v_fma_f64 v[172:173], v[164:165], v[166:167], v[162:163]
	global_load_dwordx4 v[166:169], v[174:175], off offset:2304
	ds_read_b128 v[162:165], v255 offset:12672
	;; [unrolled: 8-line block ×3, first 2 shown]
	ds_write_b128 v255, v[170:173] offset:12672
	s_waitcnt vmcnt(0) lgkmcnt(1)
	v_mul_f64 v[170:171], v[164:165], v[168:169]
	v_fma_f64 v[170:171], v[162:163], v[166:167], -v[170:171]
	v_mul_f64 v[162:163], v[162:163], v[168:169]
	v_fma_f64 v[172:173], v[164:165], v[166:167], v[162:163]
	ds_read_b128 v[162:165], v255 offset:15488
	ds_write_b128 v255, v[170:173] offset:14080
	v_add_co_u32_e32 v170, vcc, s10, v160
	v_addc_co_u32_e32 v171, vcc, 0, v161, vcc
	global_load_dwordx4 v[166:169], v[170:171], off offset:1024
	s_waitcnt vmcnt(0) lgkmcnt(1)
	v_mul_f64 v[160:161], v[164:165], v[168:169]
	v_fma_f64 v[160:161], v[162:163], v[166:167], -v[160:161]
	v_mul_f64 v[162:163], v[162:163], v[168:169]
	v_fma_f64 v[162:163], v[164:165], v[166:167], v[162:163]
	global_load_dwordx4 v[164:167], v[170:171], off offset:2432
	ds_write_b128 v255, v[160:163] offset:15488
	ds_read_b128 v[160:163], v255 offset:16896
	s_waitcnt vmcnt(0) lgkmcnt(0)
	v_mul_f64 v[168:169], v[162:163], v[166:167]
	v_fma_f64 v[168:169], v[160:161], v[164:165], -v[168:169]
	v_mul_f64 v[160:161], v[160:161], v[166:167]
	v_fma_f64 v[170:171], v[162:163], v[164:165], v[160:161]
	ds_write_b128 v255, v[168:171] offset:16896
.LBB0_13:
	s_or_b64 exec, exec, s[8:9]
	s_waitcnt lgkmcnt(0)
	s_barrier
	s_and_saveexec_b64 s[8:9], s[0:1]
	s_cbranch_execz .LBB0_15
; %bb.14:
	ds_read_b128 v[108:111], v255
	ds_read_b128 v[120:123], v255 offset:1408
	ds_read_b128 v[116:119], v255 offset:2816
	;; [unrolled: 1-line block ×12, first 2 shown]
.LBB0_15:
	s_or_b64 exec, exec, s[8:9]
	s_waitcnt lgkmcnt(0)
	v_add_f64 v[191:192], v[146:147], v[122:123]
	s_mov_b32 s10, 0x1ea71119
	s_mov_b32 s11, 0x3fe22d96
	v_add_f64 v[209:210], v[122:123], -v[146:147]
	s_mov_b32 s42, 0x4267c47c
	s_mov_b32 s43, 0xbfddbe06
	v_add_f64 v[177:178], v[144:145], v[120:121]
	v_add_f64 v[207:208], v[120:121], -v[144:145]
	v_mul_f64 v[22:23], v[191:192], s[10:11]
	v_add_f64 v[225:226], v[118:119], -v[158:159]
	s_mov_b32 s8, 0xe00740e9
	v_mul_f64 v[16:17], v[209:210], s[42:43]
	s_mov_b32 s18, 0x42a4c3d2
	s_mov_b32 s9, 0x3fec55a7
	;; [unrolled: 1-line block ×3, first 2 shown]
	v_mul_f64 v[18:19], v[191:192], s[8:9]
	buffer_store_dword v22, off, s[52:55], 0 offset:60 ; 4-byte Folded Spill
	s_nop 0
	buffer_store_dword v23, off, s[52:55], 0 offset:64 ; 4-byte Folded Spill
	v_add_f64 v[185:186], v[116:117], v[156:157]
	v_add_f64 v[213:214], v[118:119], v[158:159]
	v_fma_f64 v[160:161], v[177:178], s[8:9], -v[16:17]
	v_mul_f64 v[20:21], v[209:210], s[18:19]
	v_add_f64 v[227:228], v[116:117], -v[156:157]
	s_mov_b32 s25, 0xbfedeba7
	v_fma_f64 v[162:163], v[207:208], s[42:43], v[18:19]
	s_mov_b32 s24, 0x2ef20147
	v_mul_f64 v[26:27], v[225:226], s[24:25]
	v_mul_f64 v[24:25], v[213:214], s[10:11]
	v_add_f64 v[160:161], v[108:109], v[160:161]
	v_fma_f64 v[164:165], v[177:178], s[10:11], -v[20:21]
	s_mov_b32 s16, 0xb2365da1
	s_mov_b32 s17, 0xbfd6b1d8
	v_add_f64 v[162:163], v[110:111], v[162:163]
	v_mul_f64 v[54:55], v[213:214], s[16:17]
	v_add_f64 v[237:238], v[138:139], -v[154:155]
	s_mov_b32 s28, 0x66966769
	s_mov_b32 s29, 0xbfefc445
	v_add_f64 v[164:165], v[108:109], v[164:165]
	v_add_f64 v[197:198], v[152:153], v[136:137]
	;; [unrolled: 1-line block ×3, first 2 shown]
	s_mov_b32 s20, 0xebaa3ed8
	s_mov_b32 s21, 0x3fbedb7d
	v_mul_f64 v[64:65], v[237:238], s[28:29]
	v_add_f64 v[231:232], v[136:137], -v[152:153]
	s_mov_b32 s34, 0x4bc48dbf
	s_mov_b32 s35, 0xbfcea1e5
	v_mul_f64 v[170:171], v[237:238], s[34:35]
	v_mul_f64 v[66:67], v[205:206], s[20:21]
	s_mov_b32 s22, 0x93053d00
	s_mov_b32 s23, 0xbfef11f4
	v_mul_f64 v[172:173], v[205:206], s[22:23]
	v_add_f64 v[183:184], v[114:115], -v[150:151]
	v_add_f64 v[215:216], v[148:149], v[112:113]
	v_add_f64 v[219:220], v[150:151], v[114:115]
	;; [unrolled: 1-line block ×3, first 2 shown]
	v_add_f64 v[247:248], v[112:113], -v[148:149]
	s_mov_b32 s40, 0x24c2f84
	s_mov_b32 s41, 0x3fe5384d
	s_mov_b32 s26, 0xd0032e0c
	v_mul_f64 v[174:175], v[183:184], s[24:25]
	v_mul_f64 v[187:188], v[183:184], s[40:41]
	;; [unrolled: 1-line block ×4, first 2 shown]
	buffer_store_dword v52, off, s[52:55], 0 offset:52 ; 4-byte Folded Spill
	s_nop 0
	buffer_store_dword v53, off, s[52:55], 0 offset:56 ; 4-byte Folded Spill
	s_mov_b32 s27, 0xbfe7f3cc
	v_mul_f64 v[189:190], v[219:220], s[26:27]
	v_add_f64 v[195:196], v[130:131], -v[142:143]
	s_mov_b32 s37, 0xbfe5384d
	s_mov_b32 s36, s40
	v_add_f64 v[233:234], v[128:129], v[140:141]
	v_add_f64 v[239:240], v[130:131], v[142:143]
	v_add_f64 v[193:194], v[128:129], -v[140:141]
	s_mov_b32 s44, s28
	v_add_f64 v[201:202], v[126:127], -v[134:135]
	v_mul_f64 v[203:204], v[195:196], s[36:37]
	v_mul_f64 v[217:218], v[195:196], s[44:45]
	v_add_f64 v[251:252], v[132:133], v[124:125]
	v_add_f64 v[199:200], v[124:125], -v[132:133]
	v_mul_f64 v[211:212], v[239:240], s[26:27]
	v_mul_f64 v[229:230], v[239:240], s[20:21]
	v_mul_f64 v[245:246], v[179:180], s[22:23]
	v_mul_f64 v[235:236], v[201:202], s[34:35]
	s_mov_b32 s39, 0x3fddbe06
	s_mov_b32 s38, s42
	v_mul_f64 v[249:250], v[201:202], s[38:39]
	s_waitcnt vmcnt(0)
	s_barrier
	v_fma_f64 v[166:167], v[207:208], s[18:19], v[22:23]
	v_mul_f64 v[22:23], v[225:226], s[18:19]
	v_add_f64 v[166:167], v[110:111], v[166:167]
	v_fma_f64 v[168:169], v[185:186], s[10:11], -v[22:23]
	v_add_f64 v[160:161], v[168:169], v[160:161]
	v_fma_f64 v[168:169], v[227:228], s[18:19], v[24:25]
	v_add_f64 v[162:163], v[168:169], v[162:163]
	v_fma_f64 v[168:169], v[185:186], s[16:17], -v[26:27]
	v_add_f64 v[164:165], v[168:169], v[164:165]
	v_fma_f64 v[168:169], v[227:228], s[24:25], v[54:55]
	;; [unrolled: 4-line block ×10, first 2 shown]
	v_add_f64 v[166:167], v[168:169], v[166:167]
	s_and_saveexec_b64 s[30:31], s[0:1]
	s_cbranch_execz .LBB0_17
; %bb.16:
	v_mul_f64 v[52:53], v[177:178], s[8:9]
	v_mul_f64 v[168:169], v[207:208], s[34:35]
	v_add_f64 v[122:123], v[110:111], v[122:123]
	v_add_f64 v[120:121], v[108:109], v[120:121]
	buffer_store_dword v52, off, s[52:55], 0 offset:148 ; 4-byte Folded Spill
	s_nop 0
	buffer_store_dword v53, off, s[52:55], 0 offset:152 ; 4-byte Folded Spill
	v_mul_f64 v[52:53], v[207:208], s[42:43]
	s_mov_b32 s43, 0x3fea55e2
	s_mov_b32 s42, s18
	v_add_f64 v[118:119], v[118:119], v[122:123]
	v_add_f64 v[116:117], v[116:117], v[120:121]
	buffer_store_dword v52, off, s[52:55], 0 offset:188 ; 4-byte Folded Spill
	s_nop 0
	buffer_store_dword v53, off, s[52:55], 0 offset:192 ; 4-byte Folded Spill
	v_mul_f64 v[52:53], v[177:178], s[10:11]
	buffer_store_dword v52, off, s[52:55], 0 offset:164 ; 4-byte Folded Spill
	s_nop 0
	buffer_store_dword v53, off, s[52:55], 0 offset:168 ; 4-byte Folded Spill
	v_mul_f64 v[52:53], v[207:208], s[18:19]
	v_add_f64 v[116:117], v[136:137], v[116:117]
	v_add_f64 v[118:119], v[138:139], v[118:119]
	buffer_store_dword v52, off, s[52:55], 0 offset:356 ; 4-byte Folded Spill
	s_nop 0
	buffer_store_dword v53, off, s[52:55], 0 offset:360 ; 4-byte Folded Spill
	v_mul_f64 v[52:53], v[185:186], s[10:11]
	v_add_f64 v[114:115], v[114:115], v[118:119]
	v_add_f64 v[112:113], v[112:113], v[116:117]
	;; [unrolled: 6-line block ×8, first 2 shown]
	buffer_store_dword v52, off, s[52:55], 0 offset:156 ; 4-byte Folded Spill
	s_nop 0
	buffer_store_dword v53, off, s[52:55], 0 offset:160 ; 4-byte Folded Spill
	v_mul_f64 v[52:53], v[231:232], s[34:35]
	v_add_f64 v[112:113], v[156:157], v[112:113]
	buffer_store_dword v52, off, s[52:55], 0 offset:228 ; 4-byte Folded Spill
	s_nop 0
	buffer_store_dword v53, off, s[52:55], 0 offset:232 ; 4-byte Folded Spill
	v_mul_f64 v[52:53], v[215:216], s[16:17]
	buffer_store_dword v52, off, s[52:55], 0 offset:100 ; 4-byte Folded Spill
	s_nop 0
	buffer_store_dword v53, off, s[52:55], 0 offset:104 ; 4-byte Folded Spill
	v_mul_f64 v[52:53], v[247:248], s[24:25]
	buffer_store_dword v52, off, s[52:55], 0 offset:108 ; 4-byte Folded Spill
	s_nop 0
	buffer_store_dword v53, off, s[52:55], 0 offset:112 ; 4-byte Folded Spill
	v_mul_f64 v[52:53], v[215:216], s[26:27]
	buffer_store_dword v52, off, s[52:55], 0 offset:124 ; 4-byte Folded Spill
	s_nop 0
	buffer_store_dword v53, off, s[52:55], 0 offset:128 ; 4-byte Folded Spill
	v_mul_f64 v[52:53], v[247:248], s[40:41]
	buffer_store_dword v52, off, s[52:55], 0 offset:212 ; 4-byte Folded Spill
	s_nop 0
	buffer_store_dword v53, off, s[52:55], 0 offset:216 ; 4-byte Folded Spill
	v_mul_f64 v[52:53], v[233:234], s[26:27]
	buffer_store_dword v52, off, s[52:55], 0 offset:196 ; 4-byte Folded Spill
	s_nop 0
	buffer_store_dword v53, off, s[52:55], 0 offset:200 ; 4-byte Folded Spill
	v_mul_f64 v[52:53], v[193:194], s[36:37]
	buffer_store_dword v52, off, s[52:55], 0 offset:204 ; 4-byte Folded Spill
	s_nop 0
	buffer_store_dword v53, off, s[52:55], 0 offset:208 ; 4-byte Folded Spill
	buffer_store_dword v170, off, s[52:55], 0 offset:252 ; 4-byte Folded Spill
	s_nop 0
	buffer_store_dword v171, off, s[52:55], 0 offset:256 ; 4-byte Folded Spill
	v_mul_f64 v[52:53], v[233:234], s[20:21]
	v_mul_f64 v[170:171], v[209:210], s[34:35]
	buffer_store_dword v52, off, s[52:55], 0 offset:220 ; 4-byte Folded Spill
	s_nop 0
	buffer_store_dword v53, off, s[52:55], 0 offset:224 ; 4-byte Folded Spill
	v_mul_f64 v[52:53], v[193:194], s[44:45]
	buffer_store_dword v52, off, s[52:55], 0 offset:324 ; 4-byte Folded Spill
	s_nop 0
	buffer_store_dword v53, off, s[52:55], 0 offset:328 ; 4-byte Folded Spill
	buffer_store_dword v172, off, s[52:55], 0 offset:340 ; 4-byte Folded Spill
	s_nop 0
	buffer_store_dword v173, off, s[52:55], 0 offset:344 ; 4-byte Folded Spill
	;; [unrolled: 3-line block ×4, first 2 shown]
	buffer_store_dword v223, off, s[52:55], 0 offset:76 ; 4-byte Folded Spill
	buffer_store_dword v224, off, s[52:55], 0 offset:80 ; 4-byte Folded Spill
	;; [unrolled: 1-line block ×3, first 2 shown]
	s_nop 0
	buffer_store_dword v230, off, s[52:55], 0 offset:336 ; 4-byte Folded Spill
	v_mul_f64 v[172:173], v[227:228], s[38:39]
	v_fma_f64 v[221:222], v[191:192], s[22:23], v[168:169]
	v_mul_f64 v[223:224], v[225:226], s[38:39]
	v_fma_f64 v[229:230], v[177:178], s[22:23], -v[170:171]
	buffer_store_dword v241, off, s[52:55], 0 offset:84 ; 4-byte Folded Spill
	s_nop 0
	buffer_store_dword v242, off, s[52:55], 0 offset:88 ; 4-byte Folded Spill
	buffer_store_dword v243, off, s[52:55], 0 offset:92 ; 4-byte Folded Spill
	;; [unrolled: 1-line block ×4, first 2 shown]
	s_nop 0
	buffer_store_dword v212, off, s[52:55], 0 offset:272 ; 4-byte Folded Spill
	buffer_store_dword v235, off, s[52:55], 0 offset:260 ; 4-byte Folded Spill
	s_nop 0
	buffer_store_dword v236, off, s[52:55], 0 offset:264 ; 4-byte Folded Spill
	v_mul_f64 v[241:242], v[231:232], s[36:37]
	v_fma_f64 v[243:244], v[213:214], s[8:9], v[172:173]
	v_fma_f64 v[168:169], v[191:192], s[22:23], -v[168:169]
	v_add_f64 v[221:222], v[110:111], v[221:222]
	v_mul_f64 v[211:212], v[237:238], s[36:37]
	v_fma_f64 v[235:236], v[185:186], s[8:9], -v[223:224]
	v_add_f64 v[229:230], v[108:109], v[229:230]
	buffer_store_dword v217, off, s[52:55], 0 offset:292 ; 4-byte Folded Spill
	s_nop 0
	buffer_store_dword v218, off, s[52:55], 0 offset:296 ; 4-byte Folded Spill
	buffer_store_dword v203, off, s[52:55], 0 offset:284 ; 4-byte Folded Spill
	s_nop 0
	buffer_store_dword v204, off, s[52:55], 0 offset:288 ; 4-byte Folded Spill
	;; [unrolled: 3-line block ×3, first 2 shown]
	v_mul_f64 v[217:218], v[247:248], s[42:43]
	v_fma_f64 v[203:204], v[205:206], s[26:27], v[241:242]
	v_fma_f64 v[172:173], v[213:214], s[8:9], -v[172:173]
	v_add_f64 v[168:169], v[110:111], v[168:169]
	v_add_f64 v[221:222], v[243:244], v[221:222]
	v_mul_f64 v[243:244], v[183:184], s[42:43]
	v_fma_f64 v[245:246], v[197:198], s[26:27], -v[211:212]
	v_add_f64 v[229:230], v[235:236], v[229:230]
	buffer_store_dword v249, off, s[52:55], 0 offset:300 ; 4-byte Folded Spill
	s_nop 0
	buffer_store_dword v250, off, s[52:55], 0 offset:304 ; 4-byte Folded Spill
	v_mul_f64 v[235:236], v[193:194], s[24:25]
	v_fma_f64 v[249:250], v[219:220], s[10:11], v[217:218]
	v_fma_f64 v[241:242], v[205:206], s[26:27], -v[241:242]
	v_add_f64 v[168:169], v[172:173], v[168:169]
	v_add_f64 v[172:173], v[203:204], v[221:222]
	v_mul_f64 v[203:204], v[195:196], s[24:25]
	v_fma_f64 v[221:222], v[215:216], s[10:11], -v[243:244]
	v_add_f64 v[229:230], v[245:246], v[229:230]
	v_mul_f64 v[174:175], v[199:200], s[44:45]
	v_fma_f64 v[245:246], v[239:240], s[16:17], v[235:236]
	v_fma_f64 v[217:218], v[219:220], s[10:11], -v[217:218]
	v_fma_f64 v[170:171], v[177:178], s[22:23], v[170:171]
	v_add_f64 v[168:169], v[241:242], v[168:169]
	v_add_f64 v[172:173], v[249:250], v[172:173]
	v_mul_f64 v[241:242], v[201:202], s[44:45]
	v_fma_f64 v[249:250], v[233:234], s[16:17], -v[203:204]
	v_add_f64 v[221:222], v[221:222], v[229:230]
	v_fma_f64 v[229:230], v[239:240], s[16:17], -v[235:236]
	v_fma_f64 v[223:224], v[185:186], s[8:9], v[223:224]
	v_add_f64 v[170:171], v[108:109], v[170:171]
	v_add_f64 v[168:169], v[217:218], v[168:169]
	v_fma_f64 v[217:218], v[179:180], s[20:21], v[174:175]
	v_add_f64 v[172:173], v[245:246], v[172:173]
	v_fma_f64 v[235:236], v[251:252], s[20:21], -v[241:242]
	v_add_f64 v[221:222], v[249:250], v[221:222]
	v_fma_f64 v[174:175], v[179:180], s[20:21], -v[174:175]
	v_fma_f64 v[211:212], v[197:198], s[26:27], v[211:212]
	v_add_f64 v[223:224], v[223:224], v[170:171]
	v_add_f64 v[229:230], v[229:230], v[168:169]
	v_mul_f64 v[52:53], v[251:252], s[22:23]
	v_add_f64 v[170:171], v[217:218], v[172:173]
	v_mul_f64 v[172:173], v[207:208], s[36:37]
	;; [unrolled: 2-line block ×3, first 2 shown]
	v_fma_f64 v[217:218], v[215:216], s[10:11], v[243:244]
	v_add_f64 v[211:212], v[211:212], v[223:224]
	v_add_f64 v[174:175], v[174:175], v[229:230]
	v_fma_f64 v[223:224], v[251:252], s[20:21], v[241:242]
	v_mul_f64 v[229:230], v[227:228], s[44:45]
	v_fma_f64 v[235:236], v[191:192], s[26:27], v[172:173]
	v_mul_f64 v[241:242], v[225:226], s[44:45]
	v_fma_f64 v[243:244], v[177:178], s[26:27], -v[221:222]
	buffer_store_dword v52, off, s[52:55], 0 offset:348 ; 4-byte Folded Spill
	s_nop 0
	buffer_store_dword v53, off, s[52:55], 0 offset:352 ; 4-byte Folded Spill
	buffer_store_dword v168, off, s[52:55], 0 offset:308 ; 4-byte Folded Spill
	s_nop 0
	buffer_store_dword v169, off, s[52:55], 0 offset:312 ; 4-byte Folded Spill
	buffer_store_dword v170, off, s[52:55], 0 offset:316 ; 4-byte Folded Spill
	;; [unrolled: 1-line block ×4, first 2 shown]
	s_nop 0
	buffer_store_dword v188, off, s[52:55], 0 offset:368 ; 4-byte Folded Spill
	buffer_store_dword v189, off, s[52:55], 0 offset:404 ; 4-byte Folded Spill
	s_nop 0
	buffer_store_dword v190, off, s[52:55], 0 offset:408 ; 4-byte Folded Spill
	v_mov_b32_e32 v190, v59
	v_add_f64 v[211:212], v[217:218], v[211:212]
	v_mul_f64 v[217:218], v[231:232], s[18:19]
	v_fma_f64 v[245:246], v[213:214], s[20:21], v[229:230]
	v_add_f64 v[235:236], v[110:111], v[235:236]
	v_mul_f64 v[249:250], v[237:238], s[18:19]
	v_mov_b32_e32 v189, v58
	v_mov_b32_e32 v188, v57
	;; [unrolled: 1-line block ×5, first 2 shown]
	v_fma_f64 v[253:254], v[185:186], s[20:21], -v[241:242]
	v_add_f64 v[243:244], v[108:109], v[243:244]
	s_mov_b32 s45, 0x3fcea1e5
	buffer_store_dword v64, off, s[52:55], 0 offset:380 ; 4-byte Folded Spill
	s_nop 0
	buffer_store_dword v65, off, s[52:55], 0 offset:384 ; 4-byte Folded Spill
	s_mov_b32 s44, s34
	buffer_store_dword v181, off, s[52:55], 0 offset:372 ; 4-byte Folded Spill
	s_nop 0
	buffer_store_dword v182, off, s[52:55], 0 offset:376 ; 4-byte Folded Spill
	buffer_store_dword v16, off, s[52:55], 0 offset:388 ; 4-byte Folded Spill
	s_nop 0
	buffer_store_dword v17, off, s[52:55], 0 offset:392 ; 4-byte Folded Spill
	;; [unrolled: 3-line block ×3, first 2 shown]
	v_mul_f64 v[181:182], v[247:248], s[44:45]
	v_fma_f64 v[16:17], v[205:206], s[10:11], v[217:218]
	v_fma_f64 v[18:19], v[191:192], s[26:27], -v[172:173]
	v_add_f64 v[172:173], v[245:246], v[235:236]
	v_mul_f64 v[235:236], v[183:184], s[44:45]
	v_fma_f64 v[245:246], v[197:198], s[10:11], -v[249:250]
	v_add_f64 v[243:244], v[253:254], v[243:244]
	buffer_store_dword v20, off, s[52:55], 0 offset:420 ; 4-byte Folded Spill
	s_nop 0
	buffer_store_dword v21, off, s[52:55], 0 offset:424 ; 4-byte Folded Spill
	buffer_store_dword v22, off, s[52:55], 0 offset:396 ; 4-byte Folded Spill
	s_nop 0
	buffer_store_dword v23, off, s[52:55], 0 offset:400 ; 4-byte Folded Spill
	v_mul_f64 v[253:254], v[193:194], s[38:39]
	v_fma_f64 v[20:21], v[219:220], s[22:23], v[181:182]
	v_fma_f64 v[22:23], v[213:214], s[20:21], -v[229:230]
	v_add_f64 v[18:19], v[110:111], v[18:19]
	v_add_f64 v[16:17], v[16:17], v[172:173]
	v_mul_f64 v[229:230], v[195:196], s[38:39]
	v_fma_f64 v[172:173], v[215:216], s[22:23], -v[235:236]
	v_add_f64 v[243:244], v[245:246], v[243:244]
	buffer_store_dword v24, off, s[52:55], 0 offset:428 ; 4-byte Folded Spill
	s_nop 0
	buffer_store_dword v25, off, s[52:55], 0 offset:432 ; 4-byte Folded Spill
	buffer_store_dword v26, off, s[52:55], 0 offset:436 ; 4-byte Folded Spill
	s_nop 0
	buffer_store_dword v27, off, s[52:55], 0 offset:440 ; 4-byte Folded Spill
	v_fma_f64 v[203:204], v[233:234], s[16:17], v[203:204]
	v_fma_f64 v[24:25], v[239:240], s[8:9], v[253:254]
	v_fma_f64 v[26:27], v[205:206], s[10:11], -v[217:218]
	v_add_f64 v[18:19], v[22:23], v[18:19]
	v_add_f64 v[16:17], v[20:21], v[16:17]
	v_mul_f64 v[20:21], v[201:202], s[24:25]
	v_fma_f64 v[22:23], v[233:234], s[8:9], -v[229:230]
	v_add_f64 v[172:173], v[172:173], v[243:244]
	v_mul_f64 v[245:246], v[199:200], s[24:25]
	v_add_f64 v[203:204], v[203:204], v[211:212]
	v_fma_f64 v[181:182], v[219:220], s[22:23], -v[181:182]
	v_fma_f64 v[211:212], v[177:178], s[26:27], v[221:222]
	v_add_f64 v[18:19], v[26:27], v[18:19]
	v_add_f64 v[16:17], v[24:25], v[16:17]
	v_fma_f64 v[24:25], v[251:252], s[16:17], -v[20:21]
	v_add_f64 v[22:23], v[22:23], v[172:173]
	v_mul_f64 v[243:244], v[207:208], s[24:25]
	v_mul_f64 v[58:59], v[199:200], s[34:35]
	v_fma_f64 v[26:27], v[179:180], s[16:17], v[245:246]
	v_fma_f64 v[217:218], v[239:240], s[8:9], -v[253:254]
	v_fma_f64 v[241:242], v[185:186], s[20:21], v[241:242]
	v_add_f64 v[211:212], v[108:109], v[211:212]
	v_add_f64 v[18:19], v[181:182], v[18:19]
	v_mul_f64 v[181:182], v[209:210], s[24:25]
	v_add_f64 v[221:222], v[24:25], v[22:23]
	v_mul_f64 v[22:23], v[227:228], s[40:41]
	v_fma_f64 v[24:25], v[191:192], s[16:17], v[243:244]
	v_mov_b32_e32 v65, v63
	v_mov_b32_e32 v64, v62
	;; [unrolled: 1-line block ×5, first 2 shown]
	buffer_store_dword v58, off, s[52:55], 0 offset:444 ; 4-byte Folded Spill
	s_nop 0
	buffer_store_dword v59, off, s[52:55], 0 offset:448 ; 4-byte Folded Spill
	v_mov_b32_e32 v60, v62
	v_add_f64 v[172:173], v[223:224], v[203:204]
	v_add_f64 v[223:224], v[26:27], v[16:17]
	v_fma_f64 v[16:17], v[197:198], s[10:11], v[249:250]
	v_add_f64 v[26:27], v[241:242], v[211:212]
	v_mul_f64 v[203:204], v[225:226], s[40:41]
	v_fma_f64 v[211:212], v[177:178], s[16:17], -v[181:182]
	v_add_f64 v[18:19], v[217:218], v[18:19]
	v_fma_f64 v[217:218], v[191:192], s[16:17], -v[243:244]
	v_mul_f64 v[241:242], v[231:232], s[38:39]
	v_fma_f64 v[243:244], v[213:214], s[26:27], v[22:23]
	v_add_f64 v[24:25], v[110:111], v[24:25]
	v_mov_b32_e32 v170, v66
	v_mov_b32_e32 v61, v63
	;; [unrolled: 1-line block ×4, first 2 shown]
	buffer_load_dword v64, off, s[52:55], 0 offset:60 ; 4-byte Folded Reload
	buffer_load_dword v65, off, s[52:55], 0 offset:64 ; 4-byte Folded Reload
	;; [unrolled: 1-line block ×4, first 2 shown]
	v_mul_f64 v[249:250], v[237:238], s[38:39]
	v_fma_f64 v[253:254], v[185:186], s[26:27], -v[203:204]
	v_add_f64 v[211:212], v[108:109], v[211:212]
	v_fma_f64 v[22:23], v[213:214], s[26:27], -v[22:23]
	v_add_f64 v[217:218], v[110:111], v[217:218]
	v_fma_f64 v[235:236], v[215:216], s[22:23], v[235:236]
	v_add_f64 v[16:17], v[16:17], v[26:27]
	v_mul_f64 v[26:27], v[247:248], s[28:29]
	v_add_f64 v[24:25], v[243:244], v[24:25]
	v_fma_f64 v[243:244], v[205:206], s[8:9], v[241:242]
	v_add_f64 v[211:212], v[253:254], v[211:212]
	v_fma_f64 v[253:254], v[197:198], s[8:9], -v[249:250]
	v_add_f64 v[22:23], v[22:23], v[217:218]
	v_mul_f64 v[217:218], v[183:184], s[28:29]
	v_fma_f64 v[241:242], v[205:206], s[8:9], -v[241:242]
	v_fma_f64 v[229:230], v[233:234], s[8:9], v[229:230]
	v_add_f64 v[16:17], v[235:236], v[16:17]
	v_mul_f64 v[235:236], v[193:194], s[44:45]
	v_add_f64 v[24:25], v[243:244], v[24:25]
	v_fma_f64 v[243:244], v[219:220], s[20:21], v[26:27]
	v_mov_b32_e32 v169, v55
	v_add_f64 v[211:212], v[253:254], v[211:212]
	v_fma_f64 v[253:254], v[215:216], s[20:21], -v[217:218]
	v_add_f64 v[22:23], v[241:242], v[22:23]
	v_mul_f64 v[52:53], v[195:196], s[44:45]
	v_fma_f64 v[26:27], v[219:220], s[20:21], -v[26:27]
	v_add_f64 v[16:17], v[229:230], v[16:17]
	v_mov_b32_e32 v168, v54
	v_fma_f64 v[54:55], v[239:240], s[22:23], v[235:236]
	v_add_f64 v[24:25], v[243:244], v[24:25]
	v_fma_f64 v[229:230], v[179:180], s[16:17], -v[245:246]
	v_fma_f64 v[20:21], v[251:252], s[16:17], v[20:21]
	v_mul_f64 v[245:246], v[199:200], s[42:43]
	v_add_f64 v[211:212], v[253:254], v[211:212]
	v_add_f64 v[22:23], v[26:27], v[22:23]
	v_fma_f64 v[26:27], v[233:234], s[22:23], -v[52:53]
	v_fma_f64 v[181:182], v[177:178], s[16:17], v[181:182]
	v_add_f64 v[24:25], v[54:55], v[24:25]
	v_mul_f64 v[54:55], v[201:202], s[42:43]
	v_add_f64 v[243:244], v[229:230], v[18:19]
	v_add_f64 v[241:242], v[20:21], v[16:17]
	v_fma_f64 v[16:17], v[179:180], s[10:11], v[245:246]
	v_mul_f64 v[18:19], v[207:208], s[28:29]
	v_add_f64 v[26:27], v[26:27], v[211:212]
	v_mul_f64 v[211:212], v[227:228], s[34:35]
	v_fma_f64 v[203:204], v[185:186], s[26:27], v[203:204]
	v_fma_f64 v[207:208], v[251:252], s[10:11], -v[54:55]
	v_add_f64 v[181:182], v[108:109], v[181:182]
	s_mov_b32 s25, 0x3fedeba7
	v_add_f64 v[229:230], v[16:17], v[24:25]
	v_fma_f64 v[16:17], v[191:192], s[20:21], v[18:19]
	v_fma_f64 v[235:236], v[239:240], s[22:23], -v[235:236]
	v_mul_f64 v[24:25], v[209:210], s[28:29]
	v_mul_f64 v[209:210], v[225:226], s[34:35]
	v_add_f64 v[227:228], v[207:208], v[26:27]
	v_fma_f64 v[26:27], v[213:214], s[22:23], v[211:212]
	v_fma_f64 v[225:226], v[197:198], s[8:9], v[249:250]
	v_add_f64 v[181:182], v[203:204], v[181:182]
	v_add_f64 v[16:17], v[110:111], v[16:17]
	v_mul_f64 v[203:204], v[231:232], s[24:25]
	v_add_f64 v[22:23], v[235:236], v[22:23]
	v_fma_f64 v[207:208], v[177:178], s[20:21], -v[24:25]
	v_fma_f64 v[235:236], v[179:180], s[10:11], -v[245:246]
	v_mul_f64 v[247:248], v[247:248], s[38:39]
	v_mul_f64 v[193:194], v[193:194], s[18:19]
	v_add_f64 v[181:182], v[225:226], v[181:182]
	v_add_f64 v[16:17], v[26:27], v[16:17]
	v_fma_f64 v[225:226], v[205:206], s[16:17], v[203:204]
	v_mul_f64 v[231:232], v[199:200], s[38:39]
	v_add_f64 v[245:246], v[108:109], v[207:208]
	v_add_f64 v[207:208], v[235:236], v[22:23]
	v_fma_f64 v[22:23], v[215:216], s[20:21], v[217:218]
	v_fma_f64 v[24:25], v[177:178], s[20:21], v[24:25]
	v_fma_f64 v[26:27], v[185:186], s[22:23], -v[209:210]
	v_fma_f64 v[122:123], v[185:186], s[22:23], v[209:210]
	v_add_f64 v[16:17], v[225:226], v[16:17]
	v_fma_f64 v[225:226], v[219:220], s[8:9], v[247:248]
	v_mul_f64 v[237:238], v[237:238], s[24:25]
	v_mul_f64 v[183:184], v[183:184], s[38:39]
	v_add_f64 v[22:23], v[22:23], v[181:182]
	v_mul_f64 v[181:182], v[199:200], s[36:37]
	v_fma_f64 v[199:200], v[239:240], s[10:11], v[193:194]
	v_add_f64 v[26:27], v[26:27], v[245:246]
	v_mul_f64 v[195:196], v[195:196], s[18:19]
	v_add_f64 v[16:17], v[225:226], v[16:17]
	v_fma_f64 v[217:218], v[197:198], s[16:17], -v[237:238]
	v_fma_f64 v[18:19], v[191:192], s[20:21], -v[18:19]
	v_mul_f64 v[191:192], v[201:202], s[36:37]
	v_fma_f64 v[120:121], v[219:220], s[8:9], -v[247:248]
	v_fma_f64 v[136:137], v[239:240], s[10:11], -v[193:194]
	v_add_f64 v[24:25], v[108:109], v[24:25]
	v_fma_f64 v[201:202], v[233:234], s[10:11], -v[195:196]
	v_add_f64 v[16:17], v[199:200], v[16:17]
	v_fma_f64 v[199:200], v[213:214], s[22:23], -v[211:212]
	s_waitcnt vmcnt(0)
	v_add_f64 v[213:214], v[64:65], -v[66:67]
	buffer_load_dword v64, off, s[52:55], 0 offset:236 ; 4-byte Folded Reload
	buffer_load_dword v65, off, s[52:55], 0 offset:240 ; 4-byte Folded Reload
	v_add_f64 v[26:27], v[217:218], v[26:27]
	v_fma_f64 v[217:218], v[215:216], s[8:9], -v[183:184]
	v_add_f64 v[18:19], v[110:111], v[18:19]
	v_fma_f64 v[138:139], v[197:198], s[16:17], v[237:238]
	v_add_f64 v[24:25], v[122:123], v[24:25]
	v_fma_f64 v[118:119], v[215:216], s[8:9], v[183:184]
	v_mul_f64 v[20:21], v[251:252], s[8:9]
	v_fma_f64 v[52:53], v[233:234], s[22:23], v[52:53]
	v_fma_f64 v[116:117], v[179:180], s[26:27], -v[181:182]
	v_add_f64 v[26:27], v[217:218], v[26:27]
	v_add_f64 v[18:19], v[199:200], v[18:19]
	;; [unrolled: 1-line block ×4, first 2 shown]
	v_fma_f64 v[128:129], v[251:252], s[26:27], v[191:192]
	v_fma_f64 v[54:55], v[251:252], s[10:11], v[54:55]
	v_add_f64 v[22:23], v[52:53], v[22:23]
	v_fma_f64 v[52:53], v[179:180], s[26:27], v[181:182]
	v_add_f64 v[26:27], v[201:202], v[26:27]
	v_fma_f64 v[201:202], v[205:206], s[16:17], -v[203:204]
	v_fma_f64 v[211:212], v[251:252], s[26:27], -v[191:192]
	v_add_f64 v[24:25], v[118:119], v[24:25]
	v_mov_b32_e32 v254, v57
	v_mov_b32_e32 v253, v56
	v_add_f64 v[205:206], v[54:55], v[22:23]
	v_mov_b32_e32 v56, v187
	v_mov_b32_e32 v57, v188
	;; [unrolled: 3-line block ×3, first 2 shown]
	v_add_f64 v[18:19], v[120:121], v[18:19]
	v_add_f64 v[18:19], v[136:137], v[18:19]
	s_waitcnt vmcnt(0)
	v_add_f64 v[177:178], v[168:169], -v[64:65]
	buffer_load_dword v64, off, s[52:55], 0 offset:228 ; 4-byte Folded Reload
	buffer_load_dword v65, off, s[52:55], 0 offset:232 ; 4-byte Folded Reload
	buffer_load_dword v66, off, s[52:55], 0 offset:340 ; 4-byte Folded Reload
	buffer_load_dword v67, off, s[52:55], 0 offset:344 ; 4-byte Folded Reload
	v_add_f64 v[177:178], v[177:178], v[199:200]
	s_waitcnt vmcnt(0)
	v_add_f64 v[185:186], v[66:67], -v[64:65]
	buffer_load_dword v64, off, s[52:55], 0 offset:212 ; 4-byte Folded Reload
	buffer_load_dword v65, off, s[52:55], 0 offset:216 ; 4-byte Folded Reload
	buffer_load_dword v66, off, s[52:55], 0 offset:404 ; 4-byte Folded Reload
	buffer_load_dword v67, off, s[52:55], 0 offset:408 ; 4-byte Folded Reload
	;; [unrolled: 7-line block ×3, first 2 shown]
	v_add_f64 v[120:121], v[120:121], v[122:123]
	v_fma_f64 v[122:123], v[233:234], s[10:11], v[195:196]
	v_add_f64 v[24:25], v[122:123], v[24:25]
	s_waitcnt vmcnt(0)
	v_add_f64 v[136:137], v[66:67], -v[64:65]
	buffer_load_dword v64, off, s[52:55], 0 offset:52 ; 4-byte Folded Reload
	buffer_load_dword v65, off, s[52:55], 0 offset:56 ; 4-byte Folded Reload
	v_add_f64 v[120:121], v[136:137], v[120:121]
	s_waitcnt vmcnt(0)
	v_add_f64 v[118:119], v[64:65], -v[231:232]
	buffer_load_dword v64, off, s[52:55], 0 offset:188 ; 4-byte Folded Reload
	buffer_load_dword v65, off, s[52:55], 0 offset:192 ; 4-byte Folded Reload
	;; [unrolled: 1-line block ×4, first 2 shown]
	s_waitcnt vmcnt(0)
	v_add_f64 v[130:131], v[66:67], -v[64:65]
	buffer_load_dword v64, off, s[52:55], 0 offset:148 ; 4-byte Folded Reload
	buffer_load_dword v65, off, s[52:55], 0 offset:152 ; 4-byte Folded Reload
	buffer_load_dword v66, off, s[52:55], 0 offset:388 ; 4-byte Folded Reload
	buffer_load_dword v67, off, s[52:55], 0 offset:392 ; 4-byte Folded Reload
	v_add_f64 v[110:111], v[110:111], v[130:131]
	s_waitcnt vmcnt(0)
	v_add_f64 v[124:125], v[64:65], v[66:67]
	buffer_load_dword v64, off, s[52:55], 0 offset:164 ; 4-byte Folded Reload
	buffer_load_dword v65, off, s[52:55], 0 offset:168 ; 4-byte Folded Reload
	buffer_load_dword v66, off, s[52:55], 0 offset:420 ; 4-byte Folded Reload
	buffer_load_dword v67, off, s[52:55], 0 offset:424 ; 4-byte Folded Reload
	v_add_f64 v[124:125], v[108:109], v[124:125]
	s_waitcnt vmcnt(0)
	v_add_f64 v[126:127], v[64:65], v[66:67]
	;; [unrolled: 7-line block ×3, first 2 shown]
	buffer_load_dword v64, off, s[52:55], 0 offset:172 ; 4-byte Folded Reload
	buffer_load_dword v65, off, s[52:55], 0 offset:176 ; 4-byte Folded Reload
	;; [unrolled: 1-line block ×4, first 2 shown]
	v_add_f64 v[108:109], v[136:137], v[108:109]
	s_waitcnt vmcnt(0)
	v_add_f64 v[138:139], v[66:67], -v[64:65]
	buffer_load_dword v64, off, s[52:55], 0 offset:140 ; 4-byte Folded Reload
	buffer_load_dword v65, off, s[52:55], 0 offset:144 ; 4-byte Folded Reload
	;; [unrolled: 1-line block ×4, first 2 shown]
	v_add_f64 v[110:111], v[138:139], v[110:111]
	v_add_f64 v[138:139], v[158:159], v[114:115]
	;; [unrolled: 1-line block ×5, first 2 shown]
	s_waitcnt vmcnt(0)
	v_add_f64 v[130:131], v[64:65], v[66:67]
	buffer_load_dword v64, off, s[52:55], 0 offset:156 ; 4-byte Folded Reload
	buffer_load_dword v65, off, s[52:55], 0 offset:160 ; 4-byte Folded Reload
	;; [unrolled: 1-line block ×4, first 2 shown]
	v_add_f64 v[124:125], v[130:131], v[124:125]
	s_waitcnt vmcnt(0)
	v_add_f64 v[126:127], v[64:65], v[66:67]
	buffer_load_dword v64, off, s[52:55], 0 offset:132 ; 4-byte Folded Reload
	buffer_load_dword v65, off, s[52:55], 0 offset:136 ; 4-byte Folded Reload
	v_add_f64 v[108:109], v[126:127], v[108:109]
	s_waitcnt vmcnt(0)
	v_add_f64 v[132:133], v[170:171], -v[64:65]
	buffer_load_dword v64, off, s[52:55], 0 offset:116 ; 4-byte Folded Reload
	buffer_load_dword v65, off, s[52:55], 0 offset:120 ; 4-byte Folded Reload
	;; [unrolled: 1-line block ×4, first 2 shown]
	v_add_f64 v[110:111], v[132:133], v[110:111]
	s_waitcnt vmcnt(0)
	v_add_f64 v[134:135], v[64:65], v[66:67]
	buffer_load_dword v64, off, s[52:55], 0 offset:124 ; 4-byte Folded Reload
	buffer_load_dword v65, off, s[52:55], 0 offset:128 ; 4-byte Folded Reload
	;; [unrolled: 1-line block ×4, first 2 shown]
	v_add_f64 v[124:125], v[134:135], v[124:125]
	s_waitcnt vmcnt(0)
	v_add_f64 v[130:131], v[64:65], v[66:67]
	buffer_load_dword v64, off, s[52:55], 0 offset:108 ; 4-byte Folded Reload
	buffer_load_dword v65, off, s[52:55], 0 offset:112 ; 4-byte Folded Reload
	;; [unrolled: 1-line block ×4, first 2 shown]
	v_add_f64 v[108:109], v[130:131], v[108:109]
	s_waitcnt vmcnt(0)
	v_add_f64 v[136:137], v[66:67], -v[64:65]
	buffer_load_dword v64, off, s[52:55], 0 offset:100 ; 4-byte Folded Reload
	buffer_load_dword v65, off, s[52:55], 0 offset:104 ; 4-byte Folded Reload
	;; [unrolled: 1-line block ×4, first 2 shown]
	v_add_f64 v[110:111], v[136:137], v[110:111]
	s_waitcnt vmcnt(0)
	v_add_f64 v[132:133], v[64:65], v[66:67]
	buffer_load_dword v64, off, s[52:55], 0 offset:220 ; 4-byte Folded Reload
	buffer_load_dword v65, off, s[52:55], 0 offset:224 ; 4-byte Folded Reload
	;; [unrolled: 1-line block ×4, first 2 shown]
	v_add_f64 v[124:125], v[132:133], v[124:125]
	s_waitcnt vmcnt(0)
	v_add_f64 v[126:127], v[64:65], v[66:67]
	buffer_load_dword v64, off, s[52:55], 0 offset:204 ; 4-byte Folded Reload
	buffer_load_dword v65, off, s[52:55], 0 offset:208 ; 4-byte Folded Reload
	;; [unrolled: 1-line block ×4, first 2 shown]
	v_add_f64 v[108:109], v[126:127], v[108:109]
	v_add_f64 v[126:127], v[52:53], v[16:17]
	s_waitcnt vmcnt(0)
	v_add_f64 v[134:135], v[66:67], -v[64:65]
	buffer_load_dword v64, off, s[52:55], 0 offset:196 ; 4-byte Folded Reload
	buffer_load_dword v65, off, s[52:55], 0 offset:200 ; 4-byte Folded Reload
	;; [unrolled: 1-line block ×4, first 2 shown]
	v_add_f64 v[132:133], v[134:135], v[110:111]
	v_add_f64 v[110:111], v[116:117], v[18:19]
	s_waitcnt vmcnt(0)
	v_add_f64 v[136:137], v[64:65], v[66:67]
	buffer_load_dword v64, off, s[52:55], 0 offset:300 ; 4-byte Folded Reload
	buffer_load_dword v65, off, s[52:55], 0 offset:304 ; 4-byte Folded Reload
	v_add_f64 v[124:125], v[136:137], v[124:125]
	s_waitcnt vmcnt(0)
	v_add_f64 v[20:21], v[20:21], v[64:65]
	buffer_load_dword v64, off, s[52:55], 0 offset:276 ; 4-byte Folded Reload
	buffer_load_dword v65, off, s[52:55], 0 offset:280 ; 4-byte Folded Reload
	;; [unrolled: 1-line block ×4, first 2 shown]
	v_add_f64 v[112:113], v[20:21], v[108:109]
	v_add_f64 v[108:109], v[128:129], v[24:25]
	s_waitcnt vmcnt(0)
	v_add_f64 v[130:131], v[64:65], -v[66:67]
	buffer_load_dword v64, off, s[52:55], 0 offset:260 ; 4-byte Folded Reload
	buffer_load_dword v65, off, s[52:55], 0 offset:264 ; 4-byte Folded Reload
	buffer_load_dword v66, off, s[52:55], 0 offset:348 ; 4-byte Folded Reload
	buffer_load_dword v67, off, s[52:55], 0 offset:352 ; 4-byte Folded Reload
	buffer_load_dword v16, off, s[52:55], 0 ; 4-byte Folded Reload
	v_add_f64 v[118:119], v[130:131], v[132:133]
	s_waitcnt vmcnt(1)
	v_add_f64 v[134:135], v[66:67], v[64:65]
	s_waitcnt vmcnt(0)
	v_lshlrev_b32_e32 v16, 4, v16
	v_add_f64 v[116:117], v[134:135], v[124:125]
	ds_write_b128 v16, v[120:123]
	ds_write_b128 v16, v[116:119] offset:16
	ds_write_b128 v16, v[112:115] offset:32
	;; [unrolled: 1-line block ×5, first 2 shown]
	buffer_load_dword v241, off, s[52:55], 0 offset:84 ; 4-byte Folded Reload
	buffer_load_dword v242, off, s[52:55], 0 offset:88 ; 4-byte Folded Reload
	;; [unrolled: 1-line block ×4, first 2 shown]
	ds_write_b128 v16, v[172:175] offset:96
	buffer_load_dword v17, off, s[52:55], 0 offset:308 ; 4-byte Folded Reload
	buffer_load_dword v18, off, s[52:55], 0 offset:312 ; 4-byte Folded Reload
	;; [unrolled: 1-line block ×4, first 2 shown]
	s_waitcnt vmcnt(0)
	ds_write_b128 v16, v[17:20] offset:112
	ds_write_b128 v16, v[221:224] offset:128
	buffer_load_dword v221, off, s[52:55], 0 offset:68 ; 4-byte Folded Reload
	buffer_load_dword v222, off, s[52:55], 0 offset:72 ; 4-byte Folded Reload
	buffer_load_dword v223, off, s[52:55], 0 offset:76 ; 4-byte Folded Reload
	buffer_load_dword v224, off, s[52:55], 0 offset:80 ; 4-byte Folded Reload
	v_add_f64 v[124:125], v[211:212], v[26:27]
	ds_write_b128 v16, v[227:230] offset:144
	ds_write_b128 v16, v[124:127] offset:160
	;; [unrolled: 1-line block ×4, first 2 shown]
.LBB0_17:
	s_or_b64 exec, exec, s[30:31]
	s_waitcnt vmcnt(0) lgkmcnt(0)
	s_barrier
	ds_read_b128 v[108:111], v255 offset:1664
	ds_read_b128 v[116:119], v255 offset:4992
	ds_read_b128 v[112:115], v255 offset:3328
	s_mov_b32 s18, 0xf8bb580b
	s_mov_b32 s19, 0xbfe14ced
	s_waitcnt lgkmcnt(2)
	v_mul_f64 v[16:17], v[50:51], v[110:111]
	v_mul_f64 v[18:19], v[50:51], v[108:109]
	s_waitcnt lgkmcnt(1)
	v_mul_f64 v[24:25], v[14:15], v[118:119]
	v_mul_f64 v[14:15], v[14:15], v[116:117]
	s_mov_b32 s10, 0x8764f0ba
	s_mov_b32 s11, 0x3feaeb8c
	s_mov_b32 s8, 0x8eee2c13
	s_mov_b32 s16, 0xd9c712b6
	v_fma_f64 v[16:17], v[48:49], v[108:109], v[16:17]
	v_fma_f64 v[18:19], v[48:49], v[110:111], -v[18:19]
	ds_read_b128 v[48:51], v255
	s_waitcnt lgkmcnt(1)
	v_mul_f64 v[20:21], v[42:43], v[114:115]
	v_mul_f64 v[22:23], v[42:43], v[112:113]
	ds_read_b128 v[108:111], v255 offset:8320
	v_fma_f64 v[24:25], v[12:13], v[116:117], v[24:25]
	v_fma_f64 v[120:121], v[12:13], v[118:119], -v[14:15]
	s_waitcnt lgkmcnt(1)
	v_add_f64 v[26:27], v[48:49], v[16:17]
	v_add_f64 v[52:53], v[50:51], v[18:19]
	s_waitcnt lgkmcnt(0)
	v_mul_f64 v[122:123], v[46:47], v[110:111]
	v_fma_f64 v[20:21], v[40:41], v[112:113], v[20:21]
	v_fma_f64 v[22:23], v[40:41], v[114:115], -v[22:23]
	ds_read_b128 v[40:43], v255 offset:6656
	v_mul_f64 v[46:47], v[46:47], v[108:109]
	ds_read_b128 v[12:15], v255 offset:9984
	ds_read_b128 v[112:115], v255 offset:11648
	s_mov_b32 s22, 0x43842ef
	s_mov_b32 s26, 0x640f44db
	s_waitcnt lgkmcnt(2)
	v_mul_f64 v[54:55], v[6:7], v[42:43]
	v_mul_f64 v[6:7], v[6:7], v[40:41]
	v_add_f64 v[26:27], v[26:27], v[20:21]
	v_add_f64 v[52:53], v[52:53], v[22:23]
	s_waitcnt lgkmcnt(1)
	v_mul_f64 v[126:127], v[30:31], v[14:15]
	v_mul_f64 v[30:31], v[30:31], v[12:13]
	v_fma_f64 v[108:109], v[44:45], v[108:109], v[122:123]
	v_fma_f64 v[44:45], v[44:45], v[110:111], -v[46:47]
	v_fma_f64 v[54:55], v[4:5], v[40:41], v[54:55]
	v_fma_f64 v[124:125], v[4:5], v[42:43], -v[6:7]
	v_add_f64 v[26:27], v[26:27], v[24:25]
	v_add_f64 v[52:53], v[52:53], v[120:121]
	ds_read_b128 v[4:7], v255 offset:13312
	ds_read_b128 v[40:43], v255 offset:14976
	;; [unrolled: 1-line block ×3, first 2 shown]
	v_fma_f64 v[110:111], v[28:29], v[12:13], v[126:127]
	v_fma_f64 v[28:29], v[28:29], v[14:15], -v[30:31]
	s_waitcnt lgkmcnt(2)
	v_mul_f64 v[30:31], v[2:3], v[6:7]
	v_mul_f64 v[2:3], v[2:3], v[4:5]
	s_mov_b32 s30, 0xbb3a28a1
	v_add_f64 v[26:27], v[26:27], v[54:55]
	v_add_f64 v[46:47], v[52:53], v[124:125]
	v_mul_f64 v[52:53], v[10:11], v[114:115]
	v_mul_f64 v[10:11], v[10:11], v[112:113]
	s_mov_b32 s34, 0x7f775887
	v_fma_f64 v[4:5], v[0:1], v[4:5], v[30:31]
	v_fma_f64 v[0:1], v[0:1], v[6:7], -v[2:3]
	s_mov_b32 s38, 0xfd768dbf
	v_add_f64 v[12:13], v[26:27], v[108:109]
	v_add_f64 v[14:15], v[46:47], v[44:45]
	s_waitcnt lgkmcnt(0)
	v_mul_f64 v[26:27], v[38:39], v[116:117]
	v_fma_f64 v[46:47], v[8:9], v[112:113], v[52:53]
	v_fma_f64 v[8:9], v[8:9], v[114:115], -v[10:11]
	s_mov_b32 s40, 0x9bcd5057
	s_mov_b32 s9, 0xbfed1bb4
	;; [unrolled: 1-line block ×3, first 2 shown]
	v_add_f64 v[10:11], v[12:13], v[110:111]
	v_add_f64 v[12:13], v[14:15], v[28:29]
	v_mul_f64 v[14:15], v[38:39], v[118:119]
	v_fma_f64 v[26:27], v[36:37], v[118:119], -v[26:27]
	v_mul_f64 v[38:39], v[34:35], v[42:43]
	v_mul_f64 v[34:35], v[34:35], v[40:41]
	s_mov_b32 s23, 0xbfefac9e
	s_mov_b32 s27, 0xbfc2375f
	v_add_f64 v[2:3], v[10:11], v[46:47]
	v_add_f64 v[6:7], v[12:13], v[8:9]
	v_fma_f64 v[10:11], v[36:37], v[116:117], v[14:15]
	v_add_f64 v[30:31], v[18:19], -v[26:27]
	v_fma_f64 v[36:37], v[32:33], v[40:41], v[38:39]
	v_fma_f64 v[32:33], v[32:33], v[42:43], -v[34:35]
	v_add_f64 v[18:19], v[18:19], v[26:27]
	s_mov_b32 s31, 0xbfe82f19
	s_mov_b32 s35, 0xbfe4f49e
	v_add_f64 v[6:7], v[6:7], v[0:1]
	v_add_f64 v[34:35], v[16:17], v[10:11]
	v_mul_f64 v[38:39], v[30:31], s[18:19]
	s_mov_b32 s39, 0xbfd207e7
	s_mov_b32 s41, 0xbfeeb42a
	v_add_f64 v[2:3], v[2:3], v[4:5]
	v_add_f64 v[16:17], v[16:17], -v[10:11]
	v_mul_f64 v[40:41], v[18:19], s[10:11]
	v_add_f64 v[6:7], v[6:7], v[32:33]
	v_mul_f64 v[52:53], v[30:31], s[8:9]
	v_fma_f64 v[42:43], v[34:35], s[10:11], v[38:39]
	v_mul_f64 v[112:113], v[18:19], s[16:17]
	v_mul_f64 v[116:117], v[18:19], s[26:27]
	;; [unrolled: 1-line block ×5, first 2 shown]
	v_add_f64 v[14:15], v[6:7], v[26:27]
	v_add_f64 v[132:133], v[22:23], -v[32:33]
	v_add_f64 v[6:7], v[48:49], v[42:43]
	v_mul_f64 v[42:43], v[30:31], s[22:23]
	v_mul_f64 v[30:31], v[30:31], s[38:39]
	v_add_f64 v[22:23], v[22:23], v[32:33]
	s_mov_b32 s25, 0x3fe14ced
	s_mov_b32 s24, s18
	;; [unrolled: 1-line block ×4, first 2 shown]
	v_add_f64 v[2:3], v[2:3], v[36:37]
	v_fma_f64 v[114:115], v[16:17], s[24:25], v[40:41]
	v_fma_f64 v[32:33], v[34:35], s[40:41], v[30:31]
	;; [unrolled: 1-line block ×3, first 2 shown]
	v_add_f64 v[136:137], v[20:21], v[36:37]
	v_add_f64 v[20:21], v[20:21], -v[36:37]
	v_mul_f64 v[36:37], v[132:133], s[8:9]
	v_mul_f64 v[138:139], v[22:23], s[16:17]
	s_mov_b32 s21, 0x3fed1bb4
	s_mov_b32 s20, s8
	;; [unrolled: 1-line block ×6, first 2 shown]
	v_add_f64 v[12:13], v[2:3], v[10:11]
	v_fma_f64 v[2:3], v[34:35], s[10:11], -v[38:39]
	v_fma_f64 v[10:11], v[16:17], s[18:19], v[40:41]
	v_fma_f64 v[26:27], v[34:35], s[16:17], v[52:53]
	;; [unrolled: 1-line block ×3, first 2 shown]
	v_add_f64 v[40:41], v[50:51], v[114:115]
	v_fma_f64 v[52:53], v[34:35], s[16:17], -v[52:53]
	v_fma_f64 v[112:113], v[16:17], s[8:9], v[112:113]
	v_fma_f64 v[114:115], v[34:35], s[26:27], v[42:43]
	;; [unrolled: 1-line block ×3, first 2 shown]
	v_fma_f64 v[42:43], v[34:35], s[26:27], -v[42:43]
	v_fma_f64 v[116:117], v[16:17], s[22:23], v[116:117]
	v_fma_f64 v[128:129], v[34:35], s[34:35], v[118:119]
	;; [unrolled: 1-line block ×3, first 2 shown]
	v_fma_f64 v[118:119], v[34:35], s[34:35], -v[118:119]
	v_fma_f64 v[122:123], v[16:17], s[30:31], v[122:123]
	v_fma_f64 v[30:31], v[34:35], s[40:41], -v[30:31]
	v_fma_f64 v[16:17], v[16:17], s[38:39], v[18:19]
	v_add_f64 v[18:19], v[48:49], v[32:33]
	v_add_f64 v[32:33], v[50:51], v[134:135]
	v_mul_f64 v[34:35], v[132:133], s[30:31]
	v_mul_f64 v[134:135], v[22:23], s[34:35]
	v_fma_f64 v[140:141], v[136:137], s[16:17], v[36:37]
	v_fma_f64 v[142:143], v[20:21], s[20:21], v[138:139]
	v_add_f64 v[2:3], v[48:49], v[2:3]
	v_add_f64 v[10:11], v[50:51], v[10:11]
	v_add_f64 v[26:27], v[48:49], v[26:27]
	v_add_f64 v[38:39], v[50:51], v[38:39]
	v_add_f64 v[52:53], v[48:49], v[52:53]
	v_add_f64 v[112:113], v[50:51], v[112:113]
	v_add_f64 v[114:115], v[48:49], v[114:115]
	v_add_f64 v[126:127], v[50:51], v[126:127]
	v_add_f64 v[42:43], v[48:49], v[42:43]
	v_add_f64 v[116:117], v[50:51], v[116:117]
	v_add_f64 v[128:129], v[48:49], v[128:129]
	v_add_f64 v[130:131], v[50:51], v[130:131]
	v_add_f64 v[118:119], v[48:49], v[118:119]
	v_add_f64 v[122:123], v[50:51], v[122:123]
	v_add_f64 v[30:31], v[48:49], v[30:31]
	v_add_f64 v[16:17], v[50:51], v[16:17]
	v_fma_f64 v[36:37], v[136:137], s[16:17], -v[36:37]
	v_fma_f64 v[48:49], v[20:21], s[8:9], v[138:139]
	v_fma_f64 v[50:51], v[136:137], s[34:35], v[34:35]
	;; [unrolled: 1-line block ×3, first 2 shown]
	v_add_f64 v[6:7], v[140:141], v[6:7]
	v_add_f64 v[40:41], v[142:143], v[40:41]
	v_mul_f64 v[140:141], v[132:133], s[42:43]
	v_mul_f64 v[142:143], v[22:23], s[40:41]
	v_add_f64 v[2:3], v[36:37], v[2:3]
	v_add_f64 v[10:11], v[48:49], v[10:11]
	;; [unrolled: 1-line block ×4, first 2 shown]
	v_fma_f64 v[34:35], v[136:137], s[34:35], -v[34:35]
	v_fma_f64 v[38:39], v[20:21], s[30:31], v[134:135]
	v_fma_f64 v[48:49], v[136:137], s[40:41], v[140:141]
	;; [unrolled: 1-line block ×3, first 2 shown]
	v_mul_f64 v[134:135], v[132:133], s[28:29]
	v_mul_f64 v[138:139], v[22:23], s[26:27]
	v_fma_f64 v[142:143], v[20:21], s[42:43], v[142:143]
	v_mul_f64 v[22:23], v[22:23], s[10:11]
	v_add_f64 v[34:35], v[34:35], v[52:53]
	v_add_f64 v[38:39], v[38:39], v[112:113]
	;; [unrolled: 1-line block ×4, first 2 shown]
	v_fma_f64 v[52:53], v[136:137], s[26:27], v[134:135]
	v_fma_f64 v[126:127], v[20:21], s[28:29], v[138:139]
	v_add_f64 v[114:115], v[142:143], v[116:117]
	v_fma_f64 v[116:117], v[136:137], s[26:27], -v[134:135]
	v_fma_f64 v[112:113], v[20:21], s[22:23], v[138:139]
	v_mul_f64 v[132:133], v[132:133], s[24:25]
	v_fma_f64 v[140:141], v[136:137], s[40:41], -v[140:141]
	v_add_f64 v[52:53], v[52:53], v[128:129]
	v_add_f64 v[128:129], v[120:121], -v[0:1]
	v_add_f64 v[0:1], v[120:121], v[0:1]
	v_add_f64 v[116:117], v[116:117], v[118:119]
	;; [unrolled: 1-line block ×3, first 2 shown]
	v_fma_f64 v[122:123], v[20:21], s[18:19], v[22:23]
	v_add_f64 v[112:113], v[112:113], v[130:131]
	v_fma_f64 v[120:121], v[136:137], s[10:11], v[132:133]
	v_add_f64 v[126:127], v[24:25], v[4:5]
	v_add_f64 v[4:5], v[24:25], -v[4:5]
	v_mul_f64 v[24:25], v[128:129], s[22:23]
	v_mul_f64 v[130:131], v[0:1], s[26:27]
	v_fma_f64 v[20:21], v[20:21], s[24:25], v[22:23]
	v_add_f64 v[22:23], v[122:123], v[32:33]
	v_mul_f64 v[32:33], v[128:129], s[42:43]
	v_fma_f64 v[132:133], v[136:137], s[10:11], -v[132:133]
	v_add_f64 v[18:19], v[120:121], v[18:19]
	v_mul_f64 v[120:121], v[0:1], s[40:41]
	v_fma_f64 v[122:123], v[126:127], s[26:27], v[24:25]
	v_fma_f64 v[134:135], v[4:5], s[28:29], v[130:131]
	v_add_f64 v[16:17], v[20:21], v[16:17]
	v_fma_f64 v[20:21], v[126:127], s[26:27], -v[24:25]
	v_fma_f64 v[24:25], v[4:5], s[22:23], v[130:131]
	v_fma_f64 v[130:131], v[126:127], s[40:41], v[32:33]
	v_add_f64 v[30:31], v[132:133], v[30:31]
	v_fma_f64 v[132:133], v[4:5], s[38:39], v[120:121]
	v_add_f64 v[6:7], v[122:123], v[6:7]
	v_add_f64 v[40:41], v[134:135], v[40:41]
	v_mul_f64 v[122:123], v[128:129], s[20:21]
	v_mul_f64 v[134:135], v[0:1], s[16:17]
	v_add_f64 v[2:3], v[20:21], v[2:3]
	v_add_f64 v[20:21], v[130:131], v[26:27]
	v_fma_f64 v[26:27], v[126:127], s[40:41], -v[32:33]
	v_fma_f64 v[32:33], v[4:5], s[42:43], v[120:121]
	v_mul_f64 v[130:131], v[128:129], s[18:19]
	v_add_f64 v[42:43], v[140:141], v[42:43]
	v_add_f64 v[10:11], v[24:25], v[10:11]
	;; [unrolled: 1-line block ×3, first 2 shown]
	v_fma_f64 v[36:37], v[126:127], s[16:17], v[122:123]
	v_fma_f64 v[120:121], v[4:5], s[8:9], v[134:135]
	v_mul_f64 v[132:133], v[0:1], s[10:11]
	v_fma_f64 v[122:123], v[126:127], s[16:17], -v[122:123]
	v_fma_f64 v[134:135], v[4:5], s[20:21], v[134:135]
	v_add_f64 v[32:33], v[32:33], v[38:39]
	v_fma_f64 v[38:39], v[126:127], s[10:11], v[130:131]
	v_add_f64 v[26:27], v[26:27], v[34:35]
	v_add_f64 v[34:35], v[36:37], v[48:49]
	;; [unrolled: 1-line block ×3, first 2 shown]
	v_fma_f64 v[48:49], v[4:5], s[24:25], v[132:133]
	v_add_f64 v[42:43], v[122:123], v[42:43]
	v_add_f64 v[50:51], v[134:135], v[114:115]
	v_mul_f64 v[114:115], v[128:129], s[30:31]
	v_fma_f64 v[120:121], v[126:127], s[10:11], -v[130:131]
	v_fma_f64 v[122:123], v[4:5], s[18:19], v[132:133]
	v_add_f64 v[38:39], v[38:39], v[52:53]
	v_add_f64 v[52:53], v[124:125], -v[8:9]
	v_add_f64 v[8:9], v[124:125], v[8:9]
	v_mul_f64 v[0:1], v[0:1], s[34:35]
	v_add_f64 v[48:49], v[48:49], v[112:113]
	v_fma_f64 v[112:113], v[126:127], s[34:35], v[114:115]
	v_add_f64 v[116:117], v[120:121], v[116:117]
	v_add_f64 v[118:119], v[122:123], v[118:119]
	v_add_f64 v[120:121], v[54:55], v[46:47]
	v_add_f64 v[46:47], v[54:55], -v[46:47]
	v_mul_f64 v[122:123], v[8:9], s[34:35]
	v_fma_f64 v[124:125], v[4:5], s[36:37], v[0:1]
	v_mul_f64 v[54:55], v[52:53], s[30:31]
	v_add_f64 v[18:19], v[112:113], v[18:19]
	v_fma_f64 v[112:113], v[126:127], s[34:35], -v[114:115]
	v_fma_f64 v[0:1], v[4:5], s[30:31], v[0:1]
	v_mul_f64 v[4:5], v[52:53], s[28:29]
	v_mul_f64 v[114:115], v[8:9], s[26:27]
	v_fma_f64 v[126:127], v[46:47], s[36:37], v[122:123]
	v_fma_f64 v[122:123], v[46:47], s[30:31], v[122:123]
	v_add_f64 v[22:23], v[124:125], v[22:23]
	v_fma_f64 v[124:125], v[120:121], s[34:35], v[54:55]
	v_fma_f64 v[54:55], v[120:121], s[34:35], -v[54:55]
	v_add_f64 v[30:31], v[112:113], v[30:31]
	v_add_f64 v[0:1], v[0:1], v[16:17]
	v_fma_f64 v[16:17], v[120:121], s[26:27], v[4:5]
	v_fma_f64 v[112:113], v[46:47], s[22:23], v[114:115]
	v_add_f64 v[10:11], v[122:123], v[10:11]
	v_mul_f64 v[122:123], v[8:9], s[10:11]
	v_add_f64 v[40:41], v[126:127], v[40:41]
	v_add_f64 v[2:3], v[54:55], v[2:3]
	v_mul_f64 v[54:55], v[52:53], s[18:19]
	v_add_f64 v[6:7], v[124:125], v[6:7]
	v_add_f64 v[16:17], v[16:17], v[20:21]
	;; [unrolled: 1-line block ×3, first 2 shown]
	v_mul_f64 v[24:25], v[52:53], s[38:39]
	v_fma_f64 v[126:127], v[46:47], s[24:25], v[122:123]
	v_fma_f64 v[122:123], v[46:47], s[18:19], v[122:123]
	v_mul_f64 v[112:113], v[8:9], s[40:41]
	v_fma_f64 v[4:5], v[120:121], s[26:27], -v[4:5]
	v_fma_f64 v[114:115], v[46:47], s[28:29], v[114:115]
	v_fma_f64 v[124:125], v[120:121], s[10:11], v[54:55]
	v_fma_f64 v[54:55], v[120:121], s[10:11], -v[54:55]
	v_fma_f64 v[128:129], v[120:121], s[40:41], v[24:25]
	v_mul_f64 v[8:9], v[8:9], s[16:17]
	v_add_f64 v[50:51], v[122:123], v[50:51]
	v_add_f64 v[122:123], v[44:45], -v[28:29]
	v_add_f64 v[44:45], v[44:45], v[28:29]
	v_mul_f64 v[28:29], v[52:53], s[20:21]
	v_add_f64 v[4:5], v[4:5], v[26:27]
	v_add_f64 v[26:27], v[114:115], v[32:33]
	v_add_f64 v[114:115], v[124:125], v[34:35]
	v_add_f64 v[124:125], v[126:127], v[36:37]
	v_add_f64 v[42:43], v[54:55], v[42:43]
	v_add_f64 v[54:55], v[128:129], v[38:39]
	v_fma_f64 v[32:33], v[46:47], s[38:39], v[112:113]
	v_add_f64 v[52:53], v[108:109], v[110:111]
	v_add_f64 v[108:109], v[108:109], -v[110:111]
	v_mul_f64 v[34:35], v[122:123], s[38:39]
	v_mul_f64 v[36:37], v[44:45], s[40:41]
	v_fma_f64 v[38:39], v[120:121], s[16:17], v[28:29]
	v_fma_f64 v[110:111], v[46:47], s[8:9], v[8:9]
	;; [unrolled: 1-line block ×3, first 2 shown]
	v_fma_f64 v[24:25], v[120:121], s[40:41], -v[24:25]
	v_add_f64 v[112:113], v[32:33], v[118:119]
	v_fma_f64 v[28:29], v[120:121], s[16:17], -v[28:29]
	v_fma_f64 v[8:9], v[46:47], s[20:21], v[8:9]
	v_fma_f64 v[32:33], v[52:53], s[40:41], v[34:35]
	;; [unrolled: 1-line block ×3, first 2 shown]
	v_add_f64 v[18:19], v[38:39], v[18:19]
	v_add_f64 v[22:23], v[110:111], v[22:23]
	v_mul_f64 v[38:39], v[122:123], s[24:25]
	v_mul_f64 v[110:111], v[44:45], s[10:11]
	v_add_f64 v[24:25], v[24:25], v[116:117]
	v_add_f64 v[116:117], v[28:29], v[30:31]
	;; [unrolled: 1-line block ×5, first 2 shown]
	v_fma_f64 v[0:1], v[52:53], s[40:41], -v[34:35]
	v_fma_f64 v[6:7], v[108:109], s[38:39], v[36:37]
	v_fma_f64 v[32:33], v[52:53], s[10:11], v[38:39]
	;; [unrolled: 1-line block ×3, first 2 shown]
	v_mul_f64 v[36:37], v[122:123], s[30:31]
	v_mul_f64 v[40:41], v[44:45], s[34:35]
	v_fma_f64 v[46:47], v[108:109], s[24:25], v[110:111]
	v_fma_f64 v[38:39], v[52:53], s[10:11], -v[38:39]
	v_add_f64 v[8:9], v[0:1], v[2:3]
	v_add_f64 v[10:11], v[6:7], v[10:11]
	v_add_f64 v[32:33], v[32:33], v[16:17]
	v_add_f64 v[34:35], v[34:35], v[20:21]
	v_fma_f64 v[0:1], v[52:53], s[34:35], v[36:37]
	v_fma_f64 v[2:3], v[108:109], s[36:37], v[40:41]
	v_add_f64 v[6:7], v[46:47], v[26:27]
	v_fma_f64 v[16:17], v[52:53], s[34:35], -v[36:37]
	v_fma_f64 v[20:21], v[108:109], s[30:31], v[40:41]
	v_mul_f64 v[26:27], v[122:123], s[20:21]
	v_mul_f64 v[40:41], v[44:45], s[16:17]
	;; [unrolled: 1-line block ×4, first 2 shown]
	v_add_f64 v[48:49], v[130:131], v[48:49]
	v_add_f64 v[4:5], v[38:39], v[4:5]
	v_add_f64 v[36:37], v[0:1], v[114:115]
	v_add_f64 v[38:39], v[2:3], v[124:125]
	v_add_f64 v[0:1], v[16:17], v[42:43]
	v_add_f64 v[2:3], v[20:21], v[50:51]
	v_fma_f64 v[16:17], v[52:53], s[16:17], v[26:27]
	v_fma_f64 v[20:21], v[108:109], s[8:9], v[40:41]
	;; [unrolled: 1-line block ×5, first 2 shown]
	v_fma_f64 v[26:27], v[52:53], s[16:17], -v[26:27]
	v_fma_f64 v[52:53], v[52:53], s[26:27], -v[46:47]
	v_fma_f64 v[120:121], v[108:109], s[22:23], v[44:45]
	v_add_f64 v[40:41], v[16:17], v[54:55]
	v_add_f64 v[42:43], v[20:21], v[48:49]
	;; [unrolled: 1-line block ×8, first 2 shown]
	s_barrier
	ds_write_b128 v176, v[12:15]
	ds_write_b128 v176, v[28:31] offset:208
	ds_write_b128 v176, v[32:35] offset:416
	;; [unrolled: 1-line block ×10, first 2 shown]
	s_waitcnt lgkmcnt(0)
	s_barrier
	ds_read_b128 v[12:15], v255
	ds_read_b128 v[108:111], v255 offset:2288
	ds_read_b128 v[48:51], v255 offset:4576
	;; [unrolled: 1-line block ×7, first 2 shown]
	s_and_saveexec_b64 s[8:9], s[2:3]
	s_cbranch_execz .LBB0_19
; %bb.18:
	ds_read_b128 v[0:3], v255 offset:1664
	ds_read_b128 v[4:7], v255 offset:3952
	;; [unrolled: 1-line block ×8, first 2 shown]
.LBB0_19:
	s_or_b64 exec, exec, s[8:9]
	s_waitcnt lgkmcnt(5)
	v_mul_f64 v[20:21], v[90:91], v[50:51]
	v_mul_f64 v[22:23], v[90:91], v[48:49]
	s_waitcnt lgkmcnt(4)
	v_mul_f64 v[24:25], v[86:87], v[46:47]
	v_mul_f64 v[26:27], v[86:87], v[44:45]
	;; [unrolled: 1-line block ×4, first 2 shown]
	s_waitcnt lgkmcnt(2)
	v_mul_f64 v[52:53], v[74:75], v[30:31]
	v_mul_f64 v[54:55], v[74:75], v[28:29]
	v_fma_f64 v[20:21], v[88:89], v[48:49], v[20:21]
	v_fma_f64 v[22:23], v[88:89], v[50:51], -v[22:23]
	v_fma_f64 v[24:25], v[84:85], v[44:45], v[24:25]
	v_fma_f64 v[26:27], v[84:85], v[46:47], -v[26:27]
	v_mul_f64 v[44:45], v[78:79], v[38:39]
	v_mul_f64 v[46:47], v[78:79], v[36:37]
	s_waitcnt lgkmcnt(1)
	v_mul_f64 v[48:49], v[82:83], v[42:43]
	v_mul_f64 v[50:51], v[82:83], v[40:41]
	s_waitcnt lgkmcnt(0)
	v_mul_f64 v[74:75], v[70:71], v[34:35]
	v_mul_f64 v[70:71], v[70:71], v[32:33]
	v_fma_f64 v[16:17], v[92:93], v[108:109], v[16:17]
	v_fma_f64 v[18:19], v[92:93], v[110:111], -v[18:19]
	v_fma_f64 v[36:37], v[76:77], v[36:37], v[44:45]
	v_fma_f64 v[38:39], v[76:77], v[38:39], -v[46:47]
	v_fma_f64 v[40:41], v[80:81], v[40:41], v[48:49]
	v_fma_f64 v[42:43], v[80:81], v[42:43], -v[50:51]
	v_fma_f64 v[28:29], v[72:73], v[28:29], v[52:53]
	v_fma_f64 v[30:31], v[72:73], v[30:31], -v[54:55]
	v_fma_f64 v[32:33], v[68:69], v[32:33], v[74:75]
	v_fma_f64 v[34:35], v[68:69], v[34:35], -v[70:71]
	v_add_f64 v[36:37], v[12:13], -v[36:37]
	v_add_f64 v[38:39], v[14:15], -v[38:39]
	;; [unrolled: 1-line block ×8, first 2 shown]
	v_fma_f64 v[12:13], v[12:13], 2.0, -v[36:37]
	v_fma_f64 v[14:15], v[14:15], 2.0, -v[38:39]
	;; [unrolled: 1-line block ×8, first 2 shown]
	v_add_f64 v[52:53], v[36:37], v[42:43]
	v_add_f64 v[54:55], v[38:39], -v[40:41]
	v_add_f64 v[40:41], v[28:29], v[34:35]
	v_add_f64 v[42:43], v[30:31], -v[32:33]
	v_add_f64 v[20:21], v[12:13], -v[20:21]
	;; [unrolled: 1-line block ×5, first 2 shown]
	v_fma_f64 v[44:45], v[36:37], 2.0, -v[52:53]
	v_fma_f64 v[46:47], v[38:39], 2.0, -v[54:55]
	;; [unrolled: 1-line block ×4, first 2 shown]
	s_mov_b32 s8, 0x667f3bcd
	v_fma_f64 v[48:49], v[12:13], 2.0, -v[20:21]
	v_fma_f64 v[50:51], v[14:15], 2.0, -v[22:23]
	;; [unrolled: 1-line block ×4, first 2 shown]
	s_mov_b32 s9, 0xbfe6a09e
	v_fma_f64 v[16:17], v[32:33], s[8:9], v[44:45]
	v_fma_f64 v[18:19], v[28:29], s[8:9], v[46:47]
	s_mov_b32 s11, 0x3fe6a09e
	s_mov_b32 s10, s8
	v_fma_f64 v[36:37], v[40:41], s[10:11], v[52:53]
	v_fma_f64 v[38:39], v[42:43], s[10:11], v[54:55]
	v_add_f64 v[12:13], v[48:49], -v[12:13]
	v_add_f64 v[14:15], v[50:51], -v[14:15]
	v_fma_f64 v[28:29], v[28:29], s[10:11], v[16:17]
	v_fma_f64 v[30:31], v[32:33], s[8:9], v[18:19]
	v_add_f64 v[32:33], v[20:21], v[26:27]
	v_add_f64 v[34:35], v[22:23], -v[24:25]
	v_fma_f64 v[36:37], v[42:43], s[10:11], v[36:37]
	v_fma_f64 v[38:39], v[40:41], s[8:9], v[38:39]
	v_fma_f64 v[40:41], v[48:49], 2.0, -v[12:13]
	v_fma_f64 v[42:43], v[50:51], 2.0, -v[14:15]
	;; [unrolled: 1-line block ×8, first 2 shown]
	ds_write_b128 v255, v[40:43]
	ds_write_b128 v255, v[44:47] offset:2288
	ds_write_b128 v255, v[48:51] offset:4576
	;; [unrolled: 1-line block ×7, first 2 shown]
	s_and_saveexec_b64 s[16:17], s[2:3]
	s_cbranch_execz .LBB0_21
; %bb.20:
	buffer_load_dword v40, off, s[52:55], 0 offset:20 ; 4-byte Folded Reload
	buffer_load_dword v41, off, s[52:55], 0 offset:24 ; 4-byte Folded Reload
	;; [unrolled: 1-line block ×12, first 2 shown]
	v_mul_f64 v[14:15], v[223:224], v[10:11]
	v_mul_f64 v[18:19], v[58:59], v[4:5]
	;; [unrolled: 1-line block ×7, first 2 shown]
	v_fma_f64 v[14:15], v[221:222], v[8:9], v[14:15]
	v_mul_f64 v[8:9], v[223:224], v[8:9]
	v_fma_f64 v[6:7], v[56:57], v[6:7], -v[18:19]
	v_fma_f64 v[12:13], v[60:61], v[162:163], -v[12:13]
	v_fma_f64 v[24:25], v[241:242], v[104:105], v[24:25]
	v_fma_f64 v[4:5], v[56:57], v[4:5], v[26:27]
	;; [unrolled: 1-line block ×3, first 2 shown]
	v_fma_f64 v[30:31], v[241:242], v[106:107], -v[34:35]
	v_fma_f64 v[8:9], v[221:222], v[10:11], -v[8:9]
	v_add_f64 v[12:13], v[2:3], -v[12:13]
	v_add_f64 v[26:27], v[0:1], -v[26:27]
	v_fma_f64 v[2:3], v[2:3], 2.0, -v[12:13]
	v_fma_f64 v[0:1], v[0:1], 2.0, -v[26:27]
	s_waitcnt vmcnt(8)
	v_mul_f64 v[16:17], v[42:43], v[102:103]
	s_waitcnt vmcnt(4)
	v_mul_f64 v[20:21], v[38:39], v[96:97]
	;; [unrolled: 2-line block ×3, first 2 shown]
	v_mul_f64 v[28:29], v[38:39], v[98:99]
	v_mul_f64 v[32:33], v[46:47], v[164:165]
	v_fma_f64 v[16:17], v[40:41], v[100:101], v[16:17]
	v_fma_f64 v[18:19], v[36:37], v[98:99], -v[20:21]
	v_fma_f64 v[20:21], v[44:45], v[164:165], v[22:23]
	v_mul_f64 v[22:23], v[42:43], v[100:101]
	v_add_f64 v[16:17], v[14:15], -v[16:17]
	v_add_f64 v[18:19], v[6:7], -v[18:19]
	;; [unrolled: 1-line block ×3, first 2 shown]
	v_fma_f64 v[10:11], v[40:41], v[102:103], -v[22:23]
	v_fma_f64 v[22:23], v[36:37], v[96:97], v[28:29]
	v_fma_f64 v[28:29], v[44:45], v[166:167], -v[32:33]
	v_add_f64 v[32:33], v[12:13], -v[16:17]
	v_fma_f64 v[6:7], v[6:7], 2.0, -v[18:19]
	v_add_f64 v[34:35], v[18:19], -v[24:25]
	v_add_f64 v[10:11], v[8:9], -v[10:11]
	;; [unrolled: 1-line block ×4, first 2 shown]
	v_fma_f64 v[20:21], v[20:21], 2.0, -v[24:25]
	v_fma_f64 v[14:15], v[14:15], 2.0, -v[16:17]
	;; [unrolled: 1-line block ×5, first 2 shown]
	v_add_f64 v[16:17], v[30:31], v[22:23]
	v_add_f64 v[36:37], v[10:11], v[26:27]
	v_fma_f64 v[30:31], v[12:13], 2.0, -v[32:33]
	v_add_f64 v[28:29], v[2:3], -v[8:9]
	v_fma_f64 v[8:9], v[18:19], 2.0, -v[34:35]
	v_add_f64 v[10:11], v[4:5], -v[20:21]
	v_add_f64 v[18:19], v[6:7], -v[24:25]
	;; [unrolled: 1-line block ×3, first 2 shown]
	v_fma_f64 v[12:13], v[22:23], 2.0, -v[16:17]
	v_fma_f64 v[24:25], v[26:27], 2.0, -v[36:37]
	v_fma_f64 v[14:15], v[34:35], s[10:11], v[32:33]
	v_fma_f64 v[38:39], v[2:3], 2.0, -v[28:29]
	v_fma_f64 v[22:23], v[8:9], s[8:9], v[30:31]
	v_fma_f64 v[42:43], v[16:17], s[10:11], v[36:37]
	v_fma_f64 v[26:27], v[6:7], 2.0, -v[18:19]
	v_fma_f64 v[40:41], v[0:1], 2.0, -v[20:21]
	;; [unrolled: 1-line block ×3, first 2 shown]
	v_fma_f64 v[4:5], v[12:13], s[8:9], v[24:25]
	v_fma_f64 v[2:3], v[16:17], s[8:9], v[14:15]
	v_add_f64 v[6:7], v[28:29], -v[10:11]
	v_fma_f64 v[10:11], v[12:13], s[8:9], v[22:23]
	v_add_f64 v[14:15], v[38:39], -v[26:27]
	v_add_f64 v[12:13], v[40:41], -v[0:1]
	v_fma_f64 v[8:9], v[8:9], s[10:11], v[4:5]
	v_add_f64 v[4:5], v[20:21], v[18:19]
	v_fma_f64 v[0:1], v[34:35], s[10:11], v[42:43]
	v_fma_f64 v[22:23], v[28:29], 2.0, -v[6:7]
	v_fma_f64 v[26:27], v[30:31], 2.0, -v[10:11]
	;; [unrolled: 1-line block ×8, first 2 shown]
	ds_write_b128 v255, v[28:31] offset:1664
	ds_write_b128 v255, v[24:27] offset:3952
	;; [unrolled: 1-line block ×8, first 2 shown]
.LBB0_21:
	s_or_b64 exec, exec, s[16:17]
	s_waitcnt lgkmcnt(0)
	s_barrier
	s_and_b64 exec, exec, s[0:1]
	s_cbranch_execz .LBB0_23
; %bb.22:
	global_load_dwordx4 v[2:5], v255, s[14:15]
	global_load_dwordx4 v[6:9], v255, s[14:15] offset:1408
	global_load_dwordx4 v[10:13], v255, s[14:15] offset:2816
	v_mov_b32_e32 v1, s15
	v_add_co_u32_e32 v0, vcc, s14, v255
	v_addc_co_u32_e32 v1, vcc, 0, v1, vcc
	s_movk_i32 s0, 0x1000
	v_add_co_u32_e32 v38, vcc, s0, v0
	v_addc_co_u32_e32 v39, vcc, 0, v1, vcc
	global_load_dwordx4 v[14:17], v[38:39], off offset:128
	global_load_dwordx4 v[18:21], v[38:39], off offset:1536
	ds_read_b128 v[22:25], v255
	ds_read_b128 v[26:29], v255 offset:1408
	ds_read_b128 v[30:33], v255 offset:2816
	;; [unrolled: 1-line block ×3, first 2 shown]
	global_load_dwordx4 v[38:41], v[38:39], off offset:2944
	v_mad_u64_u32 v[80:81], s[2:3], s4, v254, 0
	v_mad_u64_u32 v[78:79], s[0:1], s6, v253, 0
	s_mul_hi_u32 s6, s4, 0x580
	s_mul_i32 s2, s4, 0x580
	s_movk_i32 s4, 0x2000
	v_add_co_u32_e32 v66, vcc, s4, v0
	v_addc_co_u32_e32 v67, vcc, 0, v1, vcc
	ds_read_b128 v[42:45], v255 offset:5632
	ds_read_b128 v[46:49], v255 offset:7040
	global_load_dwordx4 v[54:57], v[66:67], off offset:256
	ds_read_b128 v[50:53], v255 offset:16896
	global_load_dwordx4 v[58:61], v[66:67], off offset:1664
	global_load_dwordx4 v[62:65], v[66:67], off offset:3072
	s_movk_i32 s8, 0x3000
	s_mul_i32 s3, s5, 0x580
	v_add_co_u32_e32 v82, vcc, s8, v0
	v_mov_b32_e32 v66, v79
	v_mov_b32_e32 v67, v81
	s_add_i32 s3, s6, s3
	v_addc_co_u32_e32 v83, vcc, 0, v1, vcc
	v_mad_u64_u32 v[84:85], s[6:7], s7, v253, v[66:67]
	v_mad_u64_u32 v[85:86], s[4:5], s5, v254, v[67:68]
	global_load_dwordx4 v[66:69], v[82:83], off offset:384
	global_load_dwordx4 v[70:73], v[82:83], off offset:1792
	;; [unrolled: 1-line block ×3, first 2 shown]
	v_mov_b32_e32 v79, v84
	v_lshlrev_b64 v[78:79], 4, v[78:79]
	v_mov_b32_e32 v87, s13
	v_mov_b32_e32 v81, v85
	v_add_co_u32_e32 v78, vcc, s12, v78
	v_addc_co_u32_e32 v79, vcc, v87, v79, vcc
	v_lshlrev_b64 v[80:81], 4, v[80:81]
	v_mov_b32_e32 v88, s3
	v_add_co_u32_e32 v78, vcc, v78, v80
	v_addc_co_u32_e32 v79, vcc, v79, v81, vcc
	v_add_co_u32_e32 v80, vcc, s2, v78
	v_addc_co_u32_e32 v81, vcc, v79, v88, vcc
	s_mov_b32 s0, 0x55ee191
	s_mov_b32 s1, 0x3f4ca4b3
	v_mov_b32_e32 v90, s3
	s_movk_i32 s4, 0x4000
	s_waitcnt vmcnt(11) lgkmcnt(6)
	v_mul_f64 v[82:83], v[24:25], v[4:5]
	v_mul_f64 v[4:5], v[22:23], v[4:5]
	s_waitcnt vmcnt(10) lgkmcnt(5)
	v_mul_f64 v[84:85], v[28:29], v[8:9]
	v_mul_f64 v[8:9], v[26:27], v[8:9]
	;; [unrolled: 3-line block ×3, first 2 shown]
	v_fma_f64 v[22:23], v[22:23], v[2:3], v[82:83]
	v_fma_f64 v[4:5], v[2:3], v[24:25], -v[4:5]
	v_fma_f64 v[24:25], v[26:27], v[6:7], v[84:85]
	v_fma_f64 v[8:9], v[6:7], v[28:29], -v[8:9]
	v_fma_f64 v[26:27], v[30:31], v[10:11], v[86:87]
	s_waitcnt vmcnt(8) lgkmcnt(3)
	v_mul_f64 v[88:89], v[36:37], v[16:17]
	v_mul_f64 v[16:17], v[34:35], v[16:17]
	v_fma_f64 v[12:13], v[10:11], v[32:33], -v[12:13]
	v_mul_f64 v[2:3], v[22:23], s[0:1]
	v_mul_f64 v[4:5], v[4:5], s[0:1]
	s_waitcnt vmcnt(7) lgkmcnt(2)
	v_mul_f64 v[22:23], v[44:45], v[20:21]
	v_mul_f64 v[20:21], v[42:43], v[20:21]
	;; [unrolled: 1-line block ×3, first 2 shown]
	v_fma_f64 v[28:29], v[34:35], v[14:15], v[88:89]
	v_fma_f64 v[14:15], v[14:15], v[36:37], -v[16:17]
	v_mul_f64 v[8:9], v[8:9], s[0:1]
	v_mul_f64 v[10:11], v[26:27], s[0:1]
	v_mul_f64 v[12:13], v[12:13], s[0:1]
	v_add_co_u32_e32 v16, vcc, s2, v80
	v_addc_co_u32_e32 v17, vcc, v81, v90, vcc
	global_store_dwordx4 v[78:79], v[2:5], off
	global_store_dwordx4 v[80:81], v[6:9], off
	;; [unrolled: 1-line block ×3, first 2 shown]
	v_mul_f64 v[2:3], v[28:29], s[0:1]
	v_mul_f64 v[4:5], v[14:15], s[0:1]
	v_fma_f64 v[6:7], v[42:43], v[18:19], v[22:23]
	v_fma_f64 v[8:9], v[18:19], v[44:45], -v[20:21]
	s_waitcnt vmcnt(9) lgkmcnt(1)
	v_mul_f64 v[10:11], v[48:49], v[40:41]
	v_mul_f64 v[12:13], v[46:47], v[40:41]
	v_mov_b32_e32 v15, s3
	v_add_co_u32_e32 v14, vcc, s2, v16
	v_addc_co_u32_e32 v15, vcc, v17, v15, vcc
	global_store_dwordx4 v[14:15], v[2:5], off
	v_fma_f64 v[16:17], v[46:47], v[38:39], v[10:11]
	v_mul_f64 v[2:3], v[6:7], s[0:1]
	v_mul_f64 v[4:5], v[8:9], s[0:1]
	ds_read_b128 v[6:9], v255 offset:8448
	v_fma_f64 v[18:19], v[38:39], v[48:49], -v[12:13]
	ds_read_b128 v[10:13], v255 offset:9856
	v_mov_b32_e32 v24, s3
	v_add_co_u32_e32 v14, vcc, s2, v14
	s_waitcnt vmcnt(9) lgkmcnt(1)
	v_mul_f64 v[20:21], v[8:9], v[56:57]
	v_mul_f64 v[22:23], v[6:7], v[56:57]
	v_addc_co_u32_e32 v15, vcc, v15, v24, vcc
	global_store_dwordx4 v[14:15], v[2:5], off
	v_add_co_u32_e32 v14, vcc, s2, v14
	v_mul_f64 v[2:3], v[16:17], s[0:1]
	v_mul_f64 v[4:5], v[18:19], s[0:1]
	v_fma_f64 v[6:7], v[6:7], v[54:55], v[20:21]
	v_fma_f64 v[8:9], v[54:55], v[8:9], -v[22:23]
	s_waitcnt vmcnt(9) lgkmcnt(0)
	v_mul_f64 v[16:17], v[12:13], v[60:61]
	v_mul_f64 v[18:19], v[10:11], v[60:61]
	v_addc_co_u32_e32 v15, vcc, v15, v24, vcc
	global_store_dwordx4 v[14:15], v[2:5], off
	s_nop 0
	v_mul_f64 v[2:3], v[6:7], s[0:1]
	v_mul_f64 v[4:5], v[8:9], s[0:1]
	ds_read_b128 v[6:9], v255 offset:11264
	v_fma_f64 v[16:17], v[10:11], v[58:59], v[16:17]
	v_fma_f64 v[18:19], v[58:59], v[12:13], -v[18:19]
	ds_read_b128 v[10:13], v255 offset:12672
	v_add_co_u32_e32 v14, vcc, s2, v14
	s_waitcnt vmcnt(9) lgkmcnt(1)
	v_mul_f64 v[20:21], v[8:9], v[64:65]
	v_mul_f64 v[22:23], v[6:7], v[64:65]
	v_addc_co_u32_e32 v15, vcc, v15, v24, vcc
	global_store_dwordx4 v[14:15], v[2:5], off
	v_add_co_u32_e32 v14, vcc, s2, v14
	v_mul_f64 v[2:3], v[16:17], s[0:1]
	v_mul_f64 v[4:5], v[18:19], s[0:1]
	v_fma_f64 v[6:7], v[6:7], v[62:63], v[20:21]
	v_fma_f64 v[8:9], v[62:63], v[8:9], -v[22:23]
	s_waitcnt vmcnt(9) lgkmcnt(0)
	v_mul_f64 v[16:17], v[12:13], v[68:69]
	v_mul_f64 v[18:19], v[10:11], v[68:69]
	v_addc_co_u32_e32 v15, vcc, v15, v24, vcc
	v_mov_b32_e32 v20, s3
	global_store_dwordx4 v[14:15], v[2:5], off
	v_add_co_u32_e32 v14, vcc, s2, v14
	v_mul_f64 v[2:3], v[6:7], s[0:1]
	v_mul_f64 v[4:5], v[8:9], s[0:1]
	v_fma_f64 v[16:17], v[10:11], v[66:67], v[16:17]
	v_fma_f64 v[18:19], v[66:67], v[12:13], -v[18:19]
	ds_read_b128 v[6:9], v255 offset:14080
	ds_read_b128 v[10:13], v255 offset:15488
	v_addc_co_u32_e32 v15, vcc, v15, v20, vcc
	s_waitcnt vmcnt(9) lgkmcnt(1)
	v_mul_f64 v[20:21], v[8:9], v[72:73]
	v_mul_f64 v[22:23], v[6:7], v[72:73]
	s_waitcnt vmcnt(8) lgkmcnt(0)
	v_mul_f64 v[24:25], v[12:13], v[76:77]
	v_mul_f64 v[26:27], v[10:11], v[76:77]
	global_store_dwordx4 v[14:15], v[2:5], off
	v_add_co_u32_e32 v14, vcc, s2, v14
	v_mul_f64 v[2:3], v[16:17], s[0:1]
	v_mul_f64 v[4:5], v[18:19], s[0:1]
	v_fma_f64 v[6:7], v[6:7], v[70:71], v[20:21]
	v_fma_f64 v[8:9], v[70:71], v[8:9], -v[22:23]
	v_fma_f64 v[10:11], v[10:11], v[74:75], v[24:25]
	v_fma_f64 v[12:13], v[74:75], v[12:13], -v[26:27]
	v_mov_b32_e32 v16, s3
	v_addc_co_u32_e32 v15, vcc, v15, v16, vcc
	global_store_dwordx4 v[14:15], v[2:5], off
	s_nop 0
	v_mul_f64 v[2:3], v[6:7], s[0:1]
	v_mul_f64 v[4:5], v[8:9], s[0:1]
	;; [unrolled: 1-line block ×4, first 2 shown]
	v_add_co_u32_e32 v10, vcc, s2, v14
	v_addc_co_u32_e32 v11, vcc, v15, v16, vcc
	global_store_dwordx4 v[10:11], v[2:5], off
	s_nop 0
	v_mov_b32_e32 v2, s3
	v_add_co_u32_e32 v4, vcc, s2, v10
	v_addc_co_u32_e32 v5, vcc, v11, v2, vcc
	v_add_co_u32_e32 v0, vcc, s4, v0
	global_store_dwordx4 v[4:5], v[6:9], off
	v_addc_co_u32_e32 v1, vcc, 0, v1, vcc
	global_load_dwordx4 v[0:3], v[0:1], off offset:512
	v_add_co_u32_e32 v4, vcc, s2, v4
	s_waitcnt vmcnt(0)
	v_mul_f64 v[6:7], v[52:53], v[2:3]
	v_mul_f64 v[2:3], v[50:51], v[2:3]
	v_fma_f64 v[6:7], v[50:51], v[0:1], v[6:7]
	v_fma_f64 v[2:3], v[0:1], v[52:53], -v[2:3]
	v_mul_f64 v[0:1], v[6:7], s[0:1]
	v_mul_f64 v[2:3], v[2:3], s[0:1]
	v_mov_b32_e32 v6, s3
	v_addc_co_u32_e32 v5, vcc, v5, v6, vcc
	global_store_dwordx4 v[4:5], v[0:3], off
.LBB0_23:
	s_endpgm
	.section	.rodata,"a",@progbits
	.p2align	6, 0x0
	.amdhsa_kernel bluestein_single_back_len1144_dim1_dp_op_CI_CI
		.amdhsa_group_segment_fixed_size 18304
		.amdhsa_private_segment_fixed_size 456
		.amdhsa_kernarg_size 104
		.amdhsa_user_sgpr_count 6
		.amdhsa_user_sgpr_private_segment_buffer 1
		.amdhsa_user_sgpr_dispatch_ptr 0
		.amdhsa_user_sgpr_queue_ptr 0
		.amdhsa_user_sgpr_kernarg_segment_ptr 1
		.amdhsa_user_sgpr_dispatch_id 0
		.amdhsa_user_sgpr_flat_scratch_init 0
		.amdhsa_user_sgpr_private_segment_size 0
		.amdhsa_uses_dynamic_stack 0
		.amdhsa_system_sgpr_private_segment_wavefront_offset 1
		.amdhsa_system_sgpr_workgroup_id_x 1
		.amdhsa_system_sgpr_workgroup_id_y 0
		.amdhsa_system_sgpr_workgroup_id_z 0
		.amdhsa_system_sgpr_workgroup_info 0
		.amdhsa_system_vgpr_workitem_id 0
		.amdhsa_next_free_vgpr 256
		.amdhsa_next_free_sgpr 56
		.amdhsa_reserve_vcc 1
		.amdhsa_reserve_flat_scratch 0
		.amdhsa_float_round_mode_32 0
		.amdhsa_float_round_mode_16_64 0
		.amdhsa_float_denorm_mode_32 3
		.amdhsa_float_denorm_mode_16_64 3
		.amdhsa_dx10_clamp 1
		.amdhsa_ieee_mode 1
		.amdhsa_fp16_overflow 0
		.amdhsa_exception_fp_ieee_invalid_op 0
		.amdhsa_exception_fp_denorm_src 0
		.amdhsa_exception_fp_ieee_div_zero 0
		.amdhsa_exception_fp_ieee_overflow 0
		.amdhsa_exception_fp_ieee_underflow 0
		.amdhsa_exception_fp_ieee_inexact 0
		.amdhsa_exception_int_div_zero 0
	.end_amdhsa_kernel
	.text
.Lfunc_end0:
	.size	bluestein_single_back_len1144_dim1_dp_op_CI_CI, .Lfunc_end0-bluestein_single_back_len1144_dim1_dp_op_CI_CI
                                        ; -- End function
	.section	.AMDGPU.csdata,"",@progbits
; Kernel info:
; codeLenInByte = 23360
; NumSgprs: 60
; NumVgprs: 256
; ScratchSize: 456
; MemoryBound: 0
; FloatMode: 240
; IeeeMode: 1
; LDSByteSize: 18304 bytes/workgroup (compile time only)
; SGPRBlocks: 7
; VGPRBlocks: 63
; NumSGPRsForWavesPerEU: 60
; NumVGPRsForWavesPerEU: 256
; Occupancy: 1
; WaveLimiterHint : 1
; COMPUTE_PGM_RSRC2:SCRATCH_EN: 1
; COMPUTE_PGM_RSRC2:USER_SGPR: 6
; COMPUTE_PGM_RSRC2:TRAP_HANDLER: 0
; COMPUTE_PGM_RSRC2:TGID_X_EN: 1
; COMPUTE_PGM_RSRC2:TGID_Y_EN: 0
; COMPUTE_PGM_RSRC2:TGID_Z_EN: 0
; COMPUTE_PGM_RSRC2:TIDIG_COMP_CNT: 0
	.type	__hip_cuid_86dc7b172ef31635,@object ; @__hip_cuid_86dc7b172ef31635
	.section	.bss,"aw",@nobits
	.globl	__hip_cuid_86dc7b172ef31635
__hip_cuid_86dc7b172ef31635:
	.byte	0                               ; 0x0
	.size	__hip_cuid_86dc7b172ef31635, 1

	.ident	"AMD clang version 19.0.0git (https://github.com/RadeonOpenCompute/llvm-project roc-6.4.0 25133 c7fe45cf4b819c5991fe208aaa96edf142730f1d)"
	.section	".note.GNU-stack","",@progbits
	.addrsig
	.addrsig_sym __hip_cuid_86dc7b172ef31635
	.amdgpu_metadata
---
amdhsa.kernels:
  - .args:
      - .actual_access:  read_only
        .address_space:  global
        .offset:         0
        .size:           8
        .value_kind:     global_buffer
      - .actual_access:  read_only
        .address_space:  global
        .offset:         8
        .size:           8
        .value_kind:     global_buffer
      - .actual_access:  read_only
        .address_space:  global
        .offset:         16
        .size:           8
        .value_kind:     global_buffer
      - .actual_access:  read_only
        .address_space:  global
        .offset:         24
        .size:           8
        .value_kind:     global_buffer
      - .actual_access:  read_only
        .address_space:  global
        .offset:         32
        .size:           8
        .value_kind:     global_buffer
      - .offset:         40
        .size:           8
        .value_kind:     by_value
      - .address_space:  global
        .offset:         48
        .size:           8
        .value_kind:     global_buffer
      - .address_space:  global
        .offset:         56
        .size:           8
        .value_kind:     global_buffer
      - .address_space:  global
        .offset:         64
        .size:           8
        .value_kind:     global_buffer
      - .address_space:  global
        .offset:         72
        .size:           8
        .value_kind:     global_buffer
      - .offset:         80
        .size:           4
        .value_kind:     by_value
      - .address_space:  global
        .offset:         88
        .size:           8
        .value_kind:     global_buffer
      - .address_space:  global
        .offset:         96
        .size:           8
        .value_kind:     global_buffer
    .group_segment_fixed_size: 18304
    .kernarg_segment_align: 8
    .kernarg_segment_size: 104
    .language:       OpenCL C
    .language_version:
      - 2
      - 0
    .max_flat_workgroup_size: 104
    .name:           bluestein_single_back_len1144_dim1_dp_op_CI_CI
    .private_segment_fixed_size: 456
    .sgpr_count:     60
    .sgpr_spill_count: 0
    .symbol:         bluestein_single_back_len1144_dim1_dp_op_CI_CI.kd
    .uniform_work_group_size: 1
    .uses_dynamic_stack: false
    .vgpr_count:     256
    .vgpr_spill_count: 113
    .wavefront_size: 64
amdhsa.target:   amdgcn-amd-amdhsa--gfx906
amdhsa.version:
  - 1
  - 2
...

	.end_amdgpu_metadata
